;; amdgpu-corpus repo=ROCm/rocFFT kind=compiled arch=gfx1030 opt=O3
	.text
	.amdgcn_target "amdgcn-amd-amdhsa--gfx1030"
	.amdhsa_code_object_version 6
	.protected	bluestein_single_fwd_len119_dim1_dp_op_CI_CI ; -- Begin function bluestein_single_fwd_len119_dim1_dp_op_CI_CI
	.globl	bluestein_single_fwd_len119_dim1_dp_op_CI_CI
	.p2align	8
	.type	bluestein_single_fwd_len119_dim1_dp_op_CI_CI,@function
bluestein_single_fwd_len119_dim1_dp_op_CI_CI: ; @bluestein_single_fwd_len119_dim1_dp_op_CI_CI
; %bb.0:
	s_mov_b64 s[58:59], s[2:3]
	s_mov_b64 s[56:57], s[0:1]
	s_load_dwordx4 s[0:3], s[4:5], 0x28
	v_mul_u32_u24_e32 v1, 0xf10, v0
	s_add_u32 s56, s56, s7
	s_addc_u32 s57, s57, 0
	v_lshrrev_b32_e32 v1, 16, v1
	v_mad_u64_u32 v[116:117], null, s6, 15, v[1:2]
	v_mov_b32_e32 v117, 0
	s_waitcnt lgkmcnt(0)
	v_cmp_gt_u64_e32 vcc_lo, s[0:1], v[116:117]
	s_and_saveexec_b32 s0, vcc_lo
	s_cbranch_execz .LBB0_15
; %bb.1:
	v_mul_hi_u32 v2, 0x88888889, v116
	v_mul_lo_u16 v1, v1, 17
	s_clause 0x1
	s_load_dwordx2 s[6:7], s[4:5], 0x0
	s_load_dwordx2 s[12:13], s[4:5], 0x38
	v_sub_nc_u16 v0, v0, v1
	v_lshrrev_b32_e32 v2, 3, v2
	v_and_b32_e32 v207, 0xffff, v0
	v_cmp_gt_u16_e32 vcc_lo, 7, v0
	v_mul_lo_u32 v2, v2, 15
	v_or_b32_e32 v0, 56, v207
	v_lshlrev_b32_e32 v255, 4, v207
	buffer_store_dword v0, off, s[56:59], 0 offset:20 ; 4-byte Folded Spill
	v_sub_nc_u32_e32 v1, v116, v2
	v_or_b32_e32 v0, 0x70, v207
	v_mul_u32_u24_e32 v153, 0x77, v1
	buffer_store_dword v0, off, s[56:59], 0 offset:16 ; 4-byte Folded Spill
	v_lshlrev_b32_e32 v225, 4, v153
	s_and_saveexec_b32 s1, vcc_lo
	s_cbranch_execz .LBB0_3
; %bb.2:
	s_load_dwordx2 s[8:9], s[4:5], 0x18
	v_or_b32_e32 v44, 56, v207
	s_waitcnt lgkmcnt(0)
	s_load_dwordx4 s[8:11], s[8:9], 0x0
	s_clause 0x7
	global_load_dwordx4 v[4:7], v255, s[6:7]
	global_load_dwordx4 v[8:11], v255, s[6:7] offset:112
	global_load_dwordx4 v[12:15], v255, s[6:7] offset:224
	;; [unrolled: 1-line block ×7, first 2 shown]
	s_waitcnt lgkmcnt(0)
	v_mad_u64_u32 v[0:1], null, s10, v116, 0
	v_mad_u64_u32 v[2:3], null, s8, v207, 0
	s_mul_i32 s10, s9, 0x70
	s_mul_i32 s14, s8, 0x70
	v_mad_u64_u32 v[36:37], null, s11, v116, v[1:2]
	s_mul_hi_u32 s11, s8, 0x70
	s_add_i32 s11, s11, s10
	v_mov_b32_e32 v1, v36
	v_or_b32_e32 v36, 0x70, v207
	v_lshlrev_b64 v[0:1], 4, v[0:1]
	v_mad_u64_u32 v[40:41], null, s8, v36, 0
	v_add_co_u32 v46, s0, s2, v0
	v_add_co_ci_u32_e64 v47, s0, s3, v1, s0
	v_mov_b32_e32 v1, v41
	s_waitcnt vmcnt(7)
	v_mad_u64_u32 v[37:38], null, s9, v207, v[3:4]
	v_mad_u64_u32 v[38:39], null, s8, v44, 0
	v_mov_b32_e32 v3, v37
	v_mov_b32_e32 v0, v39
	v_lshlrev_b64 v[2:3], 4, v[2:3]
	v_add_co_u32 v42, s0, v46, v2
	v_add_co_ci_u32_e64 v43, s0, v47, v3, s0
	v_mad_u64_u32 v[2:3], null, s9, v44, v[0:1]
	v_add_co_u32 v56, s0, v42, s14
	v_add_co_ci_u32_e64 v57, s0, s11, v43, s0
	v_add_co_u32 v68, s0, v56, s14
	v_add_co_ci_u32_e64 v69, s0, s11, v57, s0
	v_mad_u64_u32 v[0:1], null, s9, v36, v[1:2]
	v_add_co_u32 v80, s0, v68, s14
	v_add_co_ci_u32_e64 v81, s0, s11, v69, s0
	v_mov_b32_e32 v39, v2
	v_add_co_u32 v84, s0, v80, s14
	v_add_co_ci_u32_e64 v85, s0, s11, v81, s0
	v_mov_b32_e32 v41, v0
	v_add_co_u32 v88, s0, v84, s14
	v_add_co_ci_u32_e64 v89, s0, s11, v85, s0
	v_lshlrev_b64 v[44:45], 4, v[38:39]
	v_add_co_u32 v92, s0, v88, s14
	v_add_co_ci_u32_e64 v93, s0, s11, v89, s0
	v_lshlrev_b64 v[40:41], 4, v[40:41]
	v_add_co_u32 v96, s0, v92, s14
	v_add_co_ci_u32_e64 v97, s0, s11, v93, s0
	v_add_co_u32 v44, s0, v46, v44
	v_add_co_ci_u32_e64 v45, s0, v47, v45, s0
	v_mad_u64_u32 v[100:101], null, 0xe0, s8, v[96:97]
	v_add_co_u32 v52, s0, v46, v40
	v_add_co_ci_u32_e64 v53, s0, v47, v41, s0
	s_clause 0x1
	global_load_dwordx4 v[0:3], v255, s[6:7] offset:896
	global_load_dwordx4 v[36:39], v255, s[6:7] offset:1008
	s_clause 0x1
	global_load_dwordx4 v[40:43], v[42:43], off
	global_load_dwordx4 v[44:47], v[44:45], off
	v_mov_b32_e32 v60, v101
	global_load_dwordx4 v[48:51], v255, s[6:7] offset:1792
	s_clause 0x1
	global_load_dwordx4 v[52:55], v[52:53], off
	global_load_dwordx4 v[56:59], v[56:57], off
	v_add_co_u32 v104, s0, v100, s14
	v_mad_u64_u32 v[94:95], null, 0xe0, s9, v[60:61]
	s_clause 0x1
	global_load_dwordx4 v[60:63], v255, s[6:7] offset:1120
	global_load_dwordx4 v[64:67], v255, s[6:7] offset:1232
	global_load_dwordx4 v[68:71], v[68:69], off
	s_clause 0x1
	global_load_dwordx4 v[72:75], v255, s[6:7] offset:1344
	global_load_dwordx4 v[76:79], v255, s[6:7] offset:1456
	s_clause 0x1
	global_load_dwordx4 v[80:83], v[80:81], off
	global_load_dwordx4 v[84:87], v[84:85], off
	;; [unrolled: 1-line block ×4, first 2 shown]
	v_mov_b32_e32 v101, v94
	global_load_dwordx4 v[92:95], v[92:93], off
	v_add_co_ci_u32_e64 v105, s0, s11, v101, s0
	v_add_co_u32 v108, s0, v104, s14
	global_load_dwordx4 v[100:103], v[100:101], off
	v_add_co_ci_u32_e64 v109, s0, s11, v105, s0
	v_add_co_u32 v112, s0, v108, s14
	;; [unrolled: 3-line block ×5, first 2 shown]
	v_add_co_ci_u32_e64 v134, s0, s11, v122, s0
	global_load_dwordx4 v[117:120], v[117:118], off
	global_load_dwordx4 v[121:124], v[121:122], off
	s_clause 0x1
	global_load_dwordx4 v[125:128], v255, s[6:7] offset:1568
	global_load_dwordx4 v[129:132], v255, s[6:7] offset:1680
	global_load_dwordx4 v[133:136], v[133:134], off
	s_waitcnt vmcnt(23)
	v_mul_f64 v[137:138], v[42:43], v[6:7]
	v_mul_f64 v[6:7], v[40:41], v[6:7]
	s_waitcnt vmcnt(22)
	v_mul_f64 v[139:140], v[46:47], v[2:3]
	v_mul_f64 v[141:142], v[44:45], v[2:3]
	;; [unrolled: 3-line block ×3, first 2 shown]
	v_mul_f64 v[143:144], v[54:55], v[50:51]
	s_waitcnt vmcnt(16)
	v_mul_f64 v[147:148], v[70:71], v[14:15]
	v_mul_f64 v[14:15], v[68:69], v[14:15]
	s_waitcnt vmcnt(13)
	v_mul_f64 v[149:150], v[82:83], v[18:19]
	v_mul_f64 v[18:19], v[80:81], v[18:19]
	;; [unrolled: 1-line block ×3, first 2 shown]
	s_waitcnt vmcnt(12)
	v_mul_f64 v[50:51], v[86:87], v[22:23]
	v_mul_f64 v[22:23], v[84:85], v[22:23]
	v_fma_f64 v[2:3], v[40:41], v[4:5], v[137:138]
	v_fma_f64 v[4:5], v[42:43], v[4:5], -v[6:7]
	v_fma_f64 v[40:41], v[44:45], v[0:1], v[139:140]
	v_fma_f64 v[42:43], v[46:47], v[0:1], -v[141:142]
	s_waitcnt vmcnt(11)
	v_mul_f64 v[0:1], v[90:91], v[26:27]
	v_mul_f64 v[26:27], v[88:89], v[26:27]
	v_fma_f64 v[44:45], v[56:57], v[8:9], v[145:146]
	v_fma_f64 v[46:47], v[58:59], v[8:9], -v[10:11]
	s_waitcnt vmcnt(9)
	v_mul_f64 v[8:9], v[94:95], v[30:31]
	v_mul_f64 v[30:31], v[92:93], v[30:31]
	v_fma_f64 v[6:7], v[52:53], v[48:49], v[143:144]
	v_mul_f64 v[52:53], v[98:99], v[34:35]
	v_mul_f64 v[34:35], v[96:97], v[34:35]
	s_waitcnt vmcnt(8)
	v_mul_f64 v[56:57], v[102:103], v[38:39]
	v_mul_f64 v[38:39], v[100:101], v[38:39]
	s_waitcnt vmcnt(7)
	v_mul_f64 v[58:59], v[106:107], v[62:63]
	v_mul_f64 v[62:63], v[104:105], v[62:63]
	v_fma_f64 v[10:11], v[68:69], v[12:13], v[147:148]
	s_waitcnt vmcnt(6)
	v_mul_f64 v[68:69], v[110:111], v[66:67]
	v_mul_f64 v[66:67], v[108:109], v[66:67]
	v_fma_f64 v[12:13], v[70:71], v[12:13], -v[14:15]
	s_waitcnt vmcnt(5)
	v_mul_f64 v[70:71], v[114:115], v[74:75]
	v_mul_f64 v[74:75], v[112:113], v[74:75]
	v_fma_f64 v[14:15], v[80:81], v[16:17], v[149:150]
	s_waitcnt vmcnt(4)
	v_mul_f64 v[80:81], v[119:120], v[78:79]
	v_mul_f64 v[78:79], v[117:118], v[78:79]
	v_fma_f64 v[16:17], v[82:83], v[16:17], -v[18:19]
	s_waitcnt vmcnt(2)
	v_mul_f64 v[82:83], v[123:124], v[127:128]
	v_mul_f64 v[127:128], v[121:122], v[127:128]
	s_waitcnt vmcnt(0)
	v_mul_f64 v[137:138], v[135:136], v[131:132]
	v_mul_f64 v[131:132], v[133:134], v[131:132]
	v_fma_f64 v[18:19], v[84:85], v[20:21], v[50:51]
	v_fma_f64 v[20:21], v[86:87], v[20:21], -v[22:23]
	v_fma_f64 v[22:23], v[88:89], v[24:25], v[0:1]
	v_fma_f64 v[24:25], v[90:91], v[24:25], -v[26:27]
	v_fma_f64 v[26:27], v[92:93], v[28:29], v[8:9]
	v_fma_f64 v[28:29], v[94:95], v[28:29], -v[30:31]
	v_fma_f64 v[30:31], v[96:97], v[32:33], v[52:53]
	v_fma_f64 v[32:33], v[98:99], v[32:33], -v[34:35]
	v_fma_f64 v[34:35], v[100:101], v[36:37], v[56:57]
	v_fma_f64 v[36:37], v[102:103], v[36:37], -v[38:39]
	v_fma_f64 v[50:51], v[104:105], v[60:61], v[58:59]
	v_fma_f64 v[52:53], v[106:107], v[60:61], -v[62:63]
	v_fma_f64 v[56:57], v[108:109], v[64:65], v[68:69]
	v_fma_f64 v[58:59], v[110:111], v[64:65], -v[66:67]
	v_fma_f64 v[60:61], v[112:113], v[72:73], v[70:71]
	v_fma_f64 v[62:63], v[114:115], v[72:73], -v[74:75]
	v_fma_f64 v[64:65], v[117:118], v[76:77], v[80:81]
	v_fma_f64 v[66:67], v[119:120], v[76:77], -v[78:79]
	v_fma_f64 v[68:69], v[121:122], v[125:126], v[82:83]
	v_fma_f64 v[70:71], v[123:124], v[125:126], -v[127:128]
	v_fma_f64 v[72:73], v[133:134], v[129:130], v[137:138]
	v_fma_f64 v[74:75], v[135:136], v[129:130], -v[131:132]
	v_fma_f64 v[8:9], v[54:55], v[48:49], -v[151:152]
	v_lshl_add_u32 v0, v207, 4, v225
	v_add_nc_u32_e32 v1, v225, v255
	ds_write_b128 v0, v[2:5]
	ds_write_b128 v1, v[40:43] offset:896
	ds_write_b128 v1, v[44:47] offset:112
	;; [unrolled: 1-line block ×16, first 2 shown]
.LBB0_3:
	s_or_b32 exec_lo, exec_lo, s1
	s_clause 0x1
	s_load_dwordx2 s[0:1], s[4:5], 0x20
	s_load_dwordx2 s[4:5], s[4:5], 0x8
	s_waitcnt lgkmcnt(0)
	s_waitcnt_vscnt null, 0x0
	s_barrier
	buffer_gl0_inv
                                        ; implicit-def: $vgpr78_vgpr79
                                        ; implicit-def: $vgpr74_vgpr75
                                        ; implicit-def: $vgpr70_vgpr71
                                        ; implicit-def: $vgpr66_vgpr67
                                        ; implicit-def: $vgpr50_vgpr51
                                        ; implicit-def: $vgpr84_vgpr85
                                        ; implicit-def: $vgpr88_vgpr89
                                        ; implicit-def: $vgpr92_vgpr93
                                        ; implicit-def: $vgpr96_vgpr97
                                        ; implicit-def: $vgpr100_vgpr101
                                        ; implicit-def: $vgpr104_vgpr105
                                        ; implicit-def: $vgpr80_vgpr81
                                        ; implicit-def: $vgpr60_vgpr61
                                        ; implicit-def: $vgpr56_vgpr57
                                        ; implicit-def: $vgpr52_vgpr53
                                        ; implicit-def: $vgpr44_vgpr45
                                        ; implicit-def: $vgpr40_vgpr41
	s_and_saveexec_b32 s2, vcc_lo
	s_cbranch_execz .LBB0_5
; %bb.4:
	v_lshl_add_u32 v0, v153, 4, v255
	ds_read_b128 v[48:51], v0
	ds_read_b128 v[64:67], v0 offset:112
	ds_read_b128 v[68:71], v0 offset:224
	ds_read_b128 v[72:75], v0 offset:336
	ds_read_b128 v[76:79], v0 offset:448
	ds_read_b128 v[84:87], v0 offset:560
	ds_read_b128 v[88:91], v0 offset:672
	ds_read_b128 v[92:95], v0 offset:784
	ds_read_b128 v[96:99], v0 offset:896
	ds_read_b128 v[100:103], v0 offset:1008
	ds_read_b128 v[104:107], v0 offset:1120
	ds_read_b128 v[80:83], v0 offset:1232
	ds_read_b128 v[60:63], v0 offset:1344
	ds_read_b128 v[56:59], v0 offset:1456
	ds_read_b128 v[52:55], v0 offset:1568
	ds_read_b128 v[44:47], v0 offset:1680
	ds_read_b128 v[40:43], v0 offset:1792
.LBB0_5:
	s_or_b32 exec_lo, exec_lo, s2
	s_waitcnt lgkmcnt(0)
	v_add_f64 v[0:1], v[64:65], -v[40:41]
	v_add_f64 v[2:3], v[66:67], -v[42:43]
	s_mov_b32 s38, 0x5d8e7cdc
	s_mov_b32 s46, 0x2a9d6da3
	;; [unrolled: 1-line block ×12, first 2 shown]
	v_add_f64 v[108:109], v[68:69], v[44:45]
	v_add_f64 v[110:111], v[70:71], v[46:47]
	v_add_f64 v[117:118], v[68:69], -v[44:45]
	v_add_f64 v[112:113], v[64:65], v[40:41]
	s_mov_b32 s2, 0x370991
	s_mov_b32 s3, 0x3fedd6d0
	v_add_f64 v[114:115], v[66:67], v[42:43]
	s_mov_b32 s14, 0x75d4884
	v_mul_f64 v[6:7], v[0:1], s[38:39]
	v_mul_f64 v[4:5], v[2:3], s[38:39]
	;; [unrolled: 1-line block ×12, first 2 shown]
	s_mov_b32 s15, 0x3fe7a5f6
	s_mov_b32 s18, 0x3259b75e
	;; [unrolled: 1-line block ×4, first 2 shown]
	v_mul_f64 v[123:124], v[117:118], s[46:47]
	s_mov_b32 s17, 0x3fdc86fa
	s_mov_b32 s22, 0x6ed5f1bb
	;; [unrolled: 1-line block ×5, first 2 shown]
	buffer_store_dword v4, off, s[56:59], 0 offset:408 ; 4-byte Folded Spill
	buffer_store_dword v5, off, s[56:59], 0 offset:412 ; 4-byte Folded Spill
	;; [unrolled: 1-line block ×28, first 2 shown]
	s_mov_b32 s8, 0x7faef3
	s_mov_b32 s9, 0xbfef7484
	;; [unrolled: 1-line block ×12, first 2 shown]
	v_mul_f64 v[28:29], v[2:3], s[30:31]
	s_mov_b32 s29, 0x3feca52d
	s_mov_b32 s28, s36
	v_mul_f64 v[32:33], v[0:1], s[30:31]
	v_mul_f64 v[2:3], v[2:3], s[34:35]
	s_mov_b32 s45, 0x3fd71e95
	s_mov_b32 s44, s38
	v_mul_f64 v[0:1], v[0:1], s[34:35]
	v_add_f64 v[155:156], v[72:73], v[52:53]
	v_add_f64 v[159:160], v[74:75], v[54:55]
	s_mov_b32 s41, 0x3fc7851a
	s_mov_b32 s40, s34
	v_add_f64 v[181:182], v[76:77], v[56:57]
	v_add_f64 v[185:186], v[78:79], v[58:59]
	s_mov_b32 s53, 0x3fe9895b
	s_mov_b32 s52, s26
	v_add_f64 v[209:210], v[84:85], v[60:61]
	v_add_f64 v[211:212], v[86:87], v[62:63]
	v_add_f64 v[135:136], v[90:91], -v[82:83]
	v_add_f64 v[233:234], v[88:89], v[80:81]
	v_add_f64 v[235:236], v[90:91], v[82:83]
	v_add_f64 v[205:206], v[98:99], -v[102:103]
	v_fma_f64 v[30:31], v[112:113], s[10:11], -v[28:29]
	v_fma_f64 v[28:29], v[112:113], s[10:11], v[28:29]
	v_add_f64 v[253:254], v[96:97], v[100:101]
	v_fma_f64 v[34:35], v[114:115], s[10:11], v[32:33]
	v_fma_f64 v[32:33], v[114:115], s[10:11], -v[32:33]
	v_fma_f64 v[36:37], v[112:113], s[8:9], -v[2:3]
	v_fma_f64 v[2:3], v[112:113], s[8:9], v[2:3]
	v_fma_f64 v[38:39], v[114:115], s[8:9], v[0:1]
	v_fma_f64 v[0:1], v[114:115], s[8:9], -v[0:1]
	v_add_f64 v[203:204], v[96:97], -v[100:101]
	v_mul_f64 v[143:144], v[135:136], s[46:47]
	v_mul_f64 v[175:176], v[205:206], s[44:45]
	v_add_f64 v[30:31], v[48:49], v[30:31]
	v_add_f64 v[28:29], v[48:49], v[28:29]
	;; [unrolled: 1-line block ×8, first 2 shown]
	v_mul_f64 v[197:198], v[203:204], s[26:27]
	v_mul_f64 v[201:202], v[203:204], s[28:29]
	;; [unrolled: 1-line block ×3, first 2 shown]
	v_fma_f64 v[4:5], v[112:113], s[2:3], v[4:5]
	v_fma_f64 v[6:7], v[114:115], s[2:3], -v[6:7]
	v_fma_f64 v[8:9], v[112:113], s[14:15], v[8:9]
	v_fma_f64 v[10:11], v[114:115], s[14:15], -v[10:11]
	;; [unrolled: 2-line block ×5, first 2 shown]
	v_add_f64 v[119:120], v[70:71], -v[46:47]
	v_fma_f64 v[24:25], v[112:113], s[22:23], v[24:25]
	v_fma_f64 v[26:27], v[114:115], s[22:23], -v[26:27]
	v_add_f64 v[4:5], v[48:49], v[4:5]
	v_add_f64 v[6:7], v[50:51], v[6:7]
	;; [unrolled: 1-line block ×10, first 2 shown]
	v_mul_f64 v[121:122], v[119:120], s[46:47]
	v_add_f64 v[24:25], v[48:49], v[24:25]
	v_add_f64 v[26:27], v[50:51], v[26:27]
	buffer_store_dword v121, off, s[56:59], 0 offset:104 ; 4-byte Folded Spill
	buffer_store_dword v122, off, s[56:59], 0 offset:108 ; 4-byte Folded Spill
	buffer_store_dword v123, off, s[56:59], 0 offset:112 ; 4-byte Folded Spill
	buffer_store_dword v124, off, s[56:59], 0 offset:116 ; 4-byte Folded Spill
	v_fma_f64 v[121:122], v[108:109], s[14:15], v[121:122]
	v_add_f64 v[4:5], v[121:122], v[4:5]
	v_fma_f64 v[121:122], v[110:111], s[14:15], -v[123:124]
	v_mul_f64 v[123:124], v[117:118], s[42:43]
	v_add_f64 v[6:7], v[121:122], v[6:7]
	v_mul_f64 v[121:122], v[119:120], s[42:43]
	buffer_store_dword v121, off, s[56:59], 0 offset:120 ; 4-byte Folded Spill
	buffer_store_dword v122, off, s[56:59], 0 offset:124 ; 4-byte Folded Spill
	buffer_store_dword v123, off, s[56:59], 0 offset:128 ; 4-byte Folded Spill
	buffer_store_dword v124, off, s[56:59], 0 offset:132 ; 4-byte Folded Spill
	v_fma_f64 v[121:122], v[108:109], s[18:19], v[121:122]
	v_add_f64 v[8:9], v[121:122], v[8:9]
	v_fma_f64 v[121:122], v[110:111], s[18:19], -v[123:124]
	v_mul_f64 v[123:124], v[117:118], s[26:27]
	v_add_f64 v[10:11], v[121:122], v[10:11]
	v_mul_f64 v[121:122], v[119:120], s[26:27]
	;; [unrolled: 10-line block ×5, first 2 shown]
	buffer_store_dword v121, off, s[56:59], 0 offset:184 ; 4-byte Folded Spill
	buffer_store_dword v122, off, s[56:59], 0 offset:188 ; 4-byte Folded Spill
	;; [unrolled: 1-line block ×4, first 2 shown]
	v_fma_f64 v[121:122], v[108:109], s[20:21], v[121:122]
	v_add_f64 v[24:25], v[121:122], v[24:25]
	v_fma_f64 v[121:122], v[110:111], s[20:21], -v[123:124]
	v_add_f64 v[26:27], v[121:122], v[26:27]
	v_mul_f64 v[121:122], v[119:120], s[28:29]
	v_mul_f64 v[119:120], v[119:120], s[44:45]
	v_fma_f64 v[123:124], v[108:109], s[16:17], -v[121:122]
	v_fma_f64 v[121:122], v[108:109], s[16:17], v[121:122]
	v_add_f64 v[30:31], v[123:124], v[30:31]
	v_mul_f64 v[123:124], v[117:118], s[28:29]
	v_add_f64 v[28:29], v[121:122], v[28:29]
	v_mul_f64 v[117:118], v[117:118], s[44:45]
	v_fma_f64 v[121:122], v[110:111], s[16:17], -v[123:124]
	v_fma_f64 v[125:126], v[110:111], s[16:17], v[123:124]
	v_add_f64 v[32:33], v[121:122], v[32:33]
	v_fma_f64 v[121:122], v[108:109], s[2:3], -v[119:120]
	v_fma_f64 v[119:120], v[108:109], s[2:3], v[119:120]
	v_add_f64 v[34:35], v[125:126], v[34:35]
	v_add_f64 v[36:37], v[121:122], v[36:37]
	v_fma_f64 v[121:122], v[110:111], s[2:3], v[117:118]
	v_add_f64 v[2:3], v[119:120], v[2:3]
	v_fma_f64 v[117:118], v[110:111], s[2:3], -v[117:118]
	v_add_f64 v[119:120], v[74:75], -v[54:55]
	v_add_f64 v[38:39], v[121:122], v[38:39]
	v_add_f64 v[0:1], v[117:118], v[0:1]
	v_add_f64 v[117:118], v[72:73], -v[52:53]
	v_mul_f64 v[121:122], v[119:120], s[36:37]
	buffer_store_dword v121, off, s[56:59], 0 offset:200 ; 4-byte Folded Spill
	buffer_store_dword v122, off, s[56:59], 0 offset:204 ; 4-byte Folded Spill
	v_mul_f64 v[123:124], v[117:118], s[36:37]
	buffer_store_dword v123, off, s[56:59], 0 offset:208 ; 4-byte Folded Spill
	buffer_store_dword v124, off, s[56:59], 0 offset:212 ; 4-byte Folded Spill
	v_fma_f64 v[121:122], v[155:156], s[16:17], v[121:122]
	v_add_f64 v[4:5], v[121:122], v[4:5]
	v_fma_f64 v[121:122], v[159:160], s[16:17], -v[123:124]
	v_mul_f64 v[123:124], v[117:118], s[26:27]
	v_add_f64 v[6:7], v[121:122], v[6:7]
	v_mul_f64 v[121:122], v[119:120], s[26:27]
	buffer_store_dword v121, off, s[56:59], 0 offset:216 ; 4-byte Folded Spill
	buffer_store_dword v122, off, s[56:59], 0 offset:220 ; 4-byte Folded Spill
	;; [unrolled: 1-line block ×4, first 2 shown]
	v_fma_f64 v[121:122], v[155:156], s[22:23], v[121:122]
	v_add_f64 v[8:9], v[121:122], v[8:9]
	v_fma_f64 v[121:122], v[159:160], s[22:23], -v[123:124]
	v_mul_f64 v[123:124], v[117:118], s[40:41]
	v_add_f64 v[10:11], v[121:122], v[10:11]
	v_mul_f64 v[121:122], v[119:120], s[40:41]
	buffer_store_dword v121, off, s[56:59], 0 offset:232 ; 4-byte Folded Spill
	buffer_store_dword v122, off, s[56:59], 0 offset:236 ; 4-byte Folded Spill
	;; [unrolled: 1-line block ×4, first 2 shown]
	s_mov_b32 s41, 0x3fe58eea
	s_mov_b32 s40, s46
	v_mul_f64 v[46:47], v[205:206], s[40:41]
	v_fma_f64 v[195:196], v[253:254], s[14:15], v[46:47]
	v_fma_f64 v[121:122], v[155:156], s[8:9], v[121:122]
	v_add_f64 v[12:13], v[121:122], v[12:13]
	v_fma_f64 v[121:122], v[159:160], s[8:9], -v[123:124]
	v_mul_f64 v[123:124], v[117:118], s[48:49]
	v_add_f64 v[14:15], v[121:122], v[14:15]
	v_mul_f64 v[121:122], v[119:120], s[48:49]
	buffer_store_dword v121, off, s[56:59], 0 offset:248 ; 4-byte Folded Spill
	buffer_store_dword v122, off, s[56:59], 0 offset:252 ; 4-byte Folded Spill
	buffer_store_dword v123, off, s[56:59], 0 offset:256 ; 4-byte Folded Spill
	buffer_store_dword v124, off, s[56:59], 0 offset:260 ; 4-byte Folded Spill
	v_fma_f64 v[121:122], v[155:156], s[20:21], v[121:122]
	v_add_f64 v[16:17], v[121:122], v[16:17]
	v_fma_f64 v[121:122], v[159:160], s[20:21], -v[123:124]
	v_mul_f64 v[123:124], v[117:118], s[40:41]
	v_add_f64 v[18:19], v[121:122], v[18:19]
	v_mul_f64 v[121:122], v[119:120], s[40:41]
	buffer_store_dword v121, off, s[56:59], 0 offset:264 ; 4-byte Folded Spill
	buffer_store_dword v122, off, s[56:59], 0 offset:268 ; 4-byte Folded Spill
	buffer_store_dword v123, off, s[56:59], 0 offset:272 ; 4-byte Folded Spill
	buffer_store_dword v124, off, s[56:59], 0 offset:276 ; 4-byte Folded Spill
	;; [unrolled: 10-line block ×3, first 2 shown]
	v_fma_f64 v[121:122], v[155:156], s[2:3], v[121:122]
	v_add_f64 v[24:25], v[121:122], v[24:25]
	v_fma_f64 v[121:122], v[159:160], s[2:3], -v[123:124]
	v_add_f64 v[26:27], v[121:122], v[26:27]
	v_mul_f64 v[121:122], v[119:120], s[42:43]
	v_mul_f64 v[119:120], v[119:120], s[30:31]
	v_fma_f64 v[123:124], v[155:156], s[18:19], -v[121:122]
	v_fma_f64 v[121:122], v[155:156], s[18:19], v[121:122]
	v_add_f64 v[30:31], v[123:124], v[30:31]
	v_mul_f64 v[123:124], v[117:118], s[42:43]
	v_add_f64 v[28:29], v[121:122], v[28:29]
	v_mul_f64 v[117:118], v[117:118], s[30:31]
	v_fma_f64 v[121:122], v[159:160], s[18:19], -v[123:124]
	v_fma_f64 v[125:126], v[159:160], s[18:19], v[123:124]
	v_add_f64 v[32:33], v[121:122], v[32:33]
	v_fma_f64 v[121:122], v[155:156], s[10:11], -v[119:120]
	v_fma_f64 v[119:120], v[155:156], s[10:11], v[119:120]
	v_add_f64 v[34:35], v[125:126], v[34:35]
	v_add_f64 v[36:37], v[121:122], v[36:37]
	v_fma_f64 v[121:122], v[159:160], s[10:11], v[117:118]
	v_add_f64 v[2:3], v[119:120], v[2:3]
	v_fma_f64 v[117:118], v[159:160], s[10:11], -v[117:118]
	v_add_f64 v[119:120], v[78:79], -v[58:59]
	v_add_f64 v[38:39], v[121:122], v[38:39]
	v_add_f64 v[0:1], v[117:118], v[0:1]
	v_add_f64 v[117:118], v[76:77], -v[56:57]
	v_mul_f64 v[121:122], v[119:120], s[42:43]
	buffer_store_dword v121, off, s[56:59], 0 offset:296 ; 4-byte Folded Spill
	buffer_store_dword v122, off, s[56:59], 0 offset:300 ; 4-byte Folded Spill
	v_mul_f64 v[123:124], v[117:118], s[42:43]
	buffer_store_dword v123, off, s[56:59], 0 offset:304 ; 4-byte Folded Spill
	buffer_store_dword v124, off, s[56:59], 0 offset:308 ; 4-byte Folded Spill
	v_mul_f64 v[219:220], v[117:118], s[36:37]
	v_mul_f64 v[221:222], v[119:120], s[30:31]
	;; [unrolled: 1-line block ×3, first 2 shown]
	v_fma_f64 v[121:122], v[181:182], s[18:19], v[121:122]
	v_add_f64 v[4:5], v[121:122], v[4:5]
	v_fma_f64 v[121:122], v[185:186], s[18:19], -v[123:124]
	v_mul_f64 v[123:124], v[117:118], s[34:35]
	v_add_f64 v[6:7], v[121:122], v[6:7]
	v_mul_f64 v[121:122], v[119:120], s[34:35]
	buffer_store_dword v121, off, s[56:59], 0 offset:312 ; 4-byte Folded Spill
	buffer_store_dword v122, off, s[56:59], 0 offset:316 ; 4-byte Folded Spill
	buffer_store_dword v123, off, s[56:59], 0 offset:320 ; 4-byte Folded Spill
	buffer_store_dword v124, off, s[56:59], 0 offset:324 ; 4-byte Folded Spill
	v_fma_f64 v[121:122], v[181:182], s[8:9], v[121:122]
	v_add_f64 v[8:9], v[121:122], v[8:9]
	v_fma_f64 v[121:122], v[185:186], s[8:9], -v[123:124]
	v_mul_f64 v[123:124], v[117:118], s[48:49]
	v_add_f64 v[10:11], v[121:122], v[10:11]
	v_mul_f64 v[121:122], v[119:120], s[48:49]
	buffer_store_dword v121, off, s[56:59], 0 offset:328 ; 4-byte Folded Spill
	buffer_store_dword v122, off, s[56:59], 0 offset:332 ; 4-byte Folded Spill
	buffer_store_dword v123, off, s[56:59], 0 offset:336 ; 4-byte Folded Spill
	buffer_store_dword v124, off, s[56:59], 0 offset:340 ; 4-byte Folded Spill
	;; [unrolled: 10-line block ×3, first 2 shown]
	v_fma_f64 v[121:122], v[181:182], s[2:3], v[121:122]
	v_add_f64 v[16:17], v[121:122], v[16:17]
	v_fma_f64 v[121:122], v[185:186], s[2:3], -v[123:124]
	v_add_f64 v[18:19], v[121:122], v[18:19]
	v_mul_f64 v[121:122], v[119:120], s[36:37]
	buffer_store_dword v121, off, s[56:59], 0 offset:360 ; 4-byte Folded Spill
	buffer_store_dword v122, off, s[56:59], 0 offset:364 ; 4-byte Folded Spill
	v_fma_f64 v[121:122], v[181:182], s[16:17], v[121:122]
	v_add_f64 v[20:21], v[121:122], v[20:21]
	v_fma_f64 v[121:122], v[185:186], s[16:17], -v[219:220]
	v_add_f64 v[22:23], v[121:122], v[22:23]
	v_fma_f64 v[121:122], v[181:182], s[10:11], v[221:222]
	v_add_f64 v[24:25], v[121:122], v[24:25]
	v_fma_f64 v[121:122], v[185:186], s[10:11], -v[223:224]
	v_add_f64 v[26:27], v[121:122], v[26:27]
	v_mul_f64 v[121:122], v[119:120], s[52:53]
	v_mul_f64 v[119:120], v[119:120], s[40:41]
	v_fma_f64 v[123:124], v[181:182], s[22:23], -v[121:122]
	v_fma_f64 v[121:122], v[181:182], s[22:23], v[121:122]
	v_add_f64 v[30:31], v[123:124], v[30:31]
	v_mul_f64 v[123:124], v[117:118], s[52:53]
	v_add_f64 v[28:29], v[121:122], v[28:29]
	v_mul_f64 v[117:118], v[117:118], s[40:41]
	v_fma_f64 v[121:122], v[185:186], s[22:23], -v[123:124]
	v_fma_f64 v[125:126], v[185:186], s[22:23], v[123:124]
	v_add_f64 v[32:33], v[121:122], v[32:33]
	v_fma_f64 v[121:122], v[181:182], s[14:15], -v[119:120]
	v_fma_f64 v[119:120], v[181:182], s[14:15], v[119:120]
	v_add_f64 v[34:35], v[125:126], v[34:35]
	v_add_f64 v[36:37], v[121:122], v[36:37]
	v_fma_f64 v[121:122], v[185:186], s[14:15], v[117:118]
	v_add_f64 v[2:3], v[119:120], v[2:3]
	v_fma_f64 v[117:118], v[185:186], s[14:15], -v[117:118]
	v_add_f64 v[119:120], v[86:87], -v[62:63]
	v_add_f64 v[38:39], v[121:122], v[38:39]
	v_add_f64 v[0:1], v[117:118], v[0:1]
	v_add_f64 v[117:118], v[84:85], -v[60:61]
	v_mul_f64 v[121:122], v[119:120], s[24:25]
	buffer_store_dword v121, off, s[56:59], 0 offset:368 ; 4-byte Folded Spill
	buffer_store_dword v122, off, s[56:59], 0 offset:372 ; 4-byte Folded Spill
	v_mul_f64 v[123:124], v[117:118], s[24:25]
	buffer_store_dword v123, off, s[56:59], 0 offset:376 ; 4-byte Folded Spill
	buffer_store_dword v124, off, s[56:59], 0 offset:380 ; 4-byte Folded Spill
	v_mul_f64 v[231:232], v[117:118], s[50:51]
	v_mul_f64 v[237:238], v[119:120], s[40:41]
	;; [unrolled: 1-line block ×7, first 2 shown]
	s_mov_b32 s37, 0x3fefdd0d
	s_mov_b32 s36, s42
	v_mul_f64 v[228:229], v[119:120], s[36:37]
	v_mul_f64 v[226:227], v[117:118], s[36:37]
	;; [unrolled: 1-line block ×3, first 2 shown]
	v_fma_f64 v[121:122], v[209:210], s[20:21], v[121:122]
	v_add_f64 v[4:5], v[121:122], v[4:5]
	v_fma_f64 v[121:122], v[211:212], s[20:21], -v[123:124]
	v_add_f64 v[6:7], v[121:122], v[6:7]
	v_mul_f64 v[121:122], v[119:120], s[50:51]
	buffer_store_dword v121, off, s[56:59], 0 offset:384 ; 4-byte Folded Spill
	buffer_store_dword v122, off, s[56:59], 0 offset:388 ; 4-byte Folded Spill
	v_fma_f64 v[121:122], v[209:210], s[10:11], v[121:122]
	v_add_f64 v[8:9], v[121:122], v[8:9]
	v_fma_f64 v[121:122], v[211:212], s[10:11], -v[231:232]
	v_add_f64 v[10:11], v[121:122], v[10:11]
	v_fma_f64 v[121:122], v[209:210], s[14:15], v[237:238]
	v_add_f64 v[12:13], v[121:122], v[12:13]
	v_fma_f64 v[121:122], v[211:212], s[14:15], -v[239:240]
	v_add_f64 v[14:15], v[121:122], v[14:15]
	;; [unrolled: 4-line block ×5, first 2 shown]
	v_mul_f64 v[121:122], v[119:120], s[38:39]
	v_mul_f64 v[119:120], v[119:120], s[26:27]
	v_fma_f64 v[123:124], v[209:210], s[2:3], -v[121:122]
	v_fma_f64 v[121:122], v[209:210], s[2:3], v[121:122]
	v_add_f64 v[30:31], v[123:124], v[30:31]
	v_mul_f64 v[123:124], v[117:118], s[38:39]
	v_add_f64 v[28:29], v[121:122], v[28:29]
	v_mul_f64 v[117:118], v[117:118], s[26:27]
	v_fma_f64 v[121:122], v[211:212], s[2:3], -v[123:124]
	v_fma_f64 v[125:126], v[211:212], s[2:3], v[123:124]
	v_add_f64 v[32:33], v[121:122], v[32:33]
	v_fma_f64 v[121:122], v[209:210], s[22:23], -v[119:120]
	v_fma_f64 v[119:120], v[209:210], s[22:23], v[119:120]
	v_add_f64 v[34:35], v[125:126], v[34:35]
	v_add_f64 v[36:37], v[121:122], v[36:37]
	v_fma_f64 v[121:122], v[211:212], s[22:23], v[117:118]
	v_fma_f64 v[117:118], v[211:212], s[22:23], -v[117:118]
	v_add_f64 v[2:3], v[119:120], v[2:3]
	v_add_f64 v[119:120], v[88:89], -v[80:81]
	v_add_f64 v[38:39], v[121:122], v[38:39]
	v_add_f64 v[0:1], v[117:118], v[0:1]
	v_mul_f64 v[117:118], v[135:136], s[26:27]
	v_mul_f64 v[121:122], v[119:120], s[26:27]
	;; [unrolled: 1-line block ×7, first 2 shown]
	v_fma_f64 v[123:124], v[233:234], s[22:23], v[117:118]
	v_add_f64 v[4:5], v[123:124], v[4:5]
	v_fma_f64 v[123:124], v[235:236], s[22:23], -v[121:122]
	v_add_f64 v[6:7], v[123:124], v[6:7]
	v_mul_f64 v[123:124], v[135:136], s[48:49]
	v_fma_f64 v[127:128], v[233:234], s[20:21], v[123:124]
	v_add_f64 v[8:9], v[127:128], v[8:9]
	v_fma_f64 v[127:128], v[235:236], s[20:21], -v[125:126]
	v_add_f64 v[10:11], v[127:128], v[10:11]
	v_mul_f64 v[127:128], v[135:136], s[38:39]
	;; [unrolled: 5-line block ×3, first 2 shown]
	v_fma_f64 v[137:138], v[233:234], s[10:11], v[131:132]
	v_add_f64 v[16:17], v[137:138], v[16:17]
	v_fma_f64 v[137:138], v[235:236], s[10:11], -v[133:134]
	v_add_f64 v[18:19], v[137:138], v[18:19]
	v_fma_f64 v[137:138], v[233:234], s[18:19], v[139:140]
	v_add_f64 v[20:21], v[137:138], v[20:21]
	v_fma_f64 v[137:138], v[235:236], s[18:19], -v[141:142]
	v_add_f64 v[22:23], v[137:138], v[22:23]
	;; [unrolled: 4-line block ×3, first 2 shown]
	v_mul_f64 v[137:138], v[135:136], s[34:35]
	v_mul_f64 v[135:136], v[135:136], s[28:29]
	v_fma_f64 v[145:146], v[233:234], s[8:9], -v[137:138]
	v_fma_f64 v[137:138], v[233:234], s[8:9], v[137:138]
	v_add_f64 v[30:31], v[145:146], v[30:31]
	v_mul_f64 v[145:146], v[119:120], s[34:35]
	v_add_f64 v[28:29], v[137:138], v[28:29]
	v_mul_f64 v[119:120], v[119:120], s[28:29]
	v_fma_f64 v[137:138], v[235:236], s[8:9], -v[145:146]
	v_fma_f64 v[147:148], v[235:236], s[8:9], v[145:146]
	v_add_f64 v[145:146], v[94:95], -v[106:107]
	v_add_f64 v[32:33], v[137:138], v[32:33]
	v_fma_f64 v[137:138], v[233:234], s[16:17], -v[135:136]
	v_fma_f64 v[135:136], v[233:234], s[16:17], v[135:136]
	v_mul_f64 v[151:152], v[145:146], s[30:31]
	v_add_f64 v[34:35], v[147:148], v[34:35]
	v_mul_f64 v[171:172], v[145:146], s[28:29]
	v_mul_f64 v[163:164], v[145:146], s[42:43]
	;; [unrolled: 1-line block ×5, first 2 shown]
	v_add_f64 v[36:37], v[137:138], v[36:37]
	v_fma_f64 v[137:138], v[235:236], s[16:17], v[119:120]
	v_fma_f64 v[119:120], v[235:236], s[16:17], -v[119:120]
	v_add_f64 v[2:3], v[135:136], v[2:3]
	v_add_f64 v[135:136], v[92:93], v[104:105]
	;; [unrolled: 1-line block ×4, first 2 shown]
	v_add_f64 v[119:120], v[92:93], -v[104:105]
	v_add_f64 v[137:138], v[94:95], v[106:107]
	v_fma_f64 v[147:148], v[135:136], s[10:11], v[151:152]
	v_mul_f64 v[157:158], v[119:120], s[30:31]
	v_mul_f64 v[161:162], v[119:120], s[28:29]
	v_add_f64 v[4:5], v[147:148], v[4:5]
	v_mul_f64 v[165:166], v[119:120], s[42:43]
	v_mul_f64 v[169:170], v[119:120], s[52:53]
	;; [unrolled: 1-line block ×4, first 2 shown]
	v_fma_f64 v[147:148], v[137:138], s[10:11], -v[157:158]
	v_add_f64 v[6:7], v[147:148], v[6:7]
	v_fma_f64 v[147:148], v[135:136], s[16:17], v[171:172]
	v_add_f64 v[187:188], v[147:148], v[8:9]
	v_fma_f64 v[8:9], v[137:138], s[16:17], -v[161:162]
	v_mul_f64 v[147:148], v[145:146], s[40:41]
	v_mul_f64 v[145:146], v[145:146], s[24:25]
	v_add_f64 v[189:190], v[8:9], v[10:11]
	v_fma_f64 v[8:9], v[135:136], s[18:19], v[163:164]
	v_fma_f64 v[10:11], v[137:138], s[18:19], -v[165:166]
	v_add_f64 v[8:9], v[8:9], v[12:13]
	v_fma_f64 v[12:13], v[135:136], s[22:23], v[167:168]
	v_add_f64 v[10:11], v[10:11], v[14:15]
	v_fma_f64 v[14:15], v[137:138], s[22:23], -v[169:170]
	v_add_f64 v[12:13], v[12:13], v[16:17]
	v_fma_f64 v[16:17], v[135:136], s[2:3], v[173:174]
	v_add_f64 v[14:15], v[14:15], v[18:19]
	v_fma_f64 v[18:19], v[137:138], s[2:3], -v[177:178]
	v_add_f64 v[12:13], v[195:196], v[12:13]
	v_add_f64 v[16:17], v[16:17], v[20:21]
	v_fma_f64 v[20:21], v[135:136], s[8:9], v[179:180]
	v_add_f64 v[18:19], v[18:19], v[22:23]
	v_fma_f64 v[22:23], v[137:138], s[8:9], -v[183:184]
	v_add_f64 v[20:21], v[20:21], v[24:25]
	v_fma_f64 v[24:25], v[135:136], s[14:15], -v[147:148]
	v_add_f64 v[22:23], v[22:23], v[26:27]
	v_add_f64 v[24:25], v[24:25], v[30:31]
	v_mul_f64 v[30:31], v[119:120], s[40:41]
	v_mul_f64 v[119:120], v[119:120], s[24:25]
	v_fma_f64 v[26:27], v[137:138], s[14:15], v[30:31]
	v_fma_f64 v[30:31], v[137:138], s[14:15], -v[30:31]
	v_add_f64 v[26:27], v[26:27], v[34:35]
	v_add_f64 v[30:31], v[30:31], v[32:33]
	v_fma_f64 v[32:33], v[135:136], s[20:21], -v[145:146]
	v_fma_f64 v[34:35], v[135:136], s[14:15], v[147:148]
	v_mul_f64 v[147:148], v[203:204], s[34:35]
	v_add_f64 v[32:33], v[32:33], v[36:37]
	v_fma_f64 v[36:37], v[135:136], s[20:21], v[145:146]
	v_add_f64 v[28:29], v[34:35], v[28:29]
	v_fma_f64 v[34:35], v[137:138], s[20:21], v[119:120]
	v_mul_f64 v[145:146], v[205:206], s[34:35]
	v_add_f64 v[36:37], v[36:37], v[2:3]
	v_fma_f64 v[2:3], v[137:138], s[20:21], -v[119:120]
	v_add_f64 v[34:35], v[34:35], v[38:39]
	v_add_f64 v[119:120], v[98:99], v[102:103]
	;; [unrolled: 1-line block ×3, first 2 shown]
	v_fma_f64 v[0:1], v[253:254], s[8:9], v[145:146]
	v_fma_f64 v[2:3], v[119:120], s[8:9], -v[147:148]
	v_add_f64 v[248:249], v[0:1], v[4:5]
	v_fma_f64 v[4:5], v[253:254], s[2:3], v[175:176]
	v_add_f64 v[250:251], v[2:3], v[6:7]
	v_fma_f64 v[6:7], v[119:120], s[2:3], -v[193:194]
	v_add_f64 v[0:1], v[4:5], v[187:188]
	v_mul_f64 v[4:5], v[203:204], s[40:41]
	v_add_f64 v[2:3], v[6:7], v[189:190]
	v_mul_f64 v[6:7], v[205:206], s[30:31]
	buffer_store_dword v0, off, s[56:59], 0 ; 4-byte Folded Spill
	buffer_store_dword v1, off, s[56:59], 0 offset:4 ; 4-byte Folded Spill
	buffer_store_dword v2, off, s[56:59], 0 offset:8 ; 4-byte Folded Spill
	;; [unrolled: 1-line block ×3, first 2 shown]
	v_fma_f64 v[195:196], v[119:120], s[14:15], -v[4:5]
	v_mul_f64 v[2:3], v[203:204], s[30:31]
	v_fma_f64 v[191:192], v[253:254], s[10:11], v[6:7]
	s_waitcnt_vscnt null, 0x0
	s_barrier
	buffer_gl0_inv
	v_add_f64 v[14:15], v[195:196], v[14:15]
	v_mul_f64 v[195:196], v[205:206], s[26:27]
	v_add_f64 v[8:9], v[191:192], v[8:9]
	v_fma_f64 v[191:192], v[119:120], s[10:11], -v[2:3]
	v_fma_f64 v[199:200], v[253:254], s[22:23], v[195:196]
	v_add_f64 v[10:11], v[191:192], v[10:11]
	v_add_f64 v[16:17], v[199:200], v[16:17]
	v_fma_f64 v[199:200], v[119:120], s[22:23], -v[197:198]
	v_add_f64 v[18:19], v[199:200], v[18:19]
	v_mul_f64 v[199:200], v[205:206], s[28:29]
	v_fma_f64 v[213:214], v[253:254], s[16:17], v[199:200]
	v_add_f64 v[20:21], v[213:214], v[20:21]
	v_fma_f64 v[213:214], v[119:120], s[16:17], -v[201:202]
	v_add_f64 v[22:23], v[213:214], v[22:23]
	v_mul_f64 v[213:214], v[205:206], s[24:25]
	v_mul_f64 v[205:206], v[205:206], s[36:37]
	v_fma_f64 v[215:216], v[253:254], s[20:21], -v[213:214]
	v_fma_f64 v[213:214], v[253:254], s[20:21], v[213:214]
	v_add_f64 v[24:25], v[215:216], v[24:25]
	v_mul_f64 v[215:216], v[203:204], s[24:25]
	v_add_f64 v[28:29], v[213:214], v[28:29]
	v_mul_f64 v[203:204], v[203:204], s[36:37]
	v_fma_f64 v[213:214], v[119:120], s[20:21], -v[215:216]
	v_fma_f64 v[217:218], v[119:120], s[20:21], v[215:216]
	v_add_f64 v[30:31], v[213:214], v[30:31]
	v_fma_f64 v[213:214], v[253:254], s[18:19], -v[205:206]
	v_fma_f64 v[205:206], v[253:254], s[18:19], v[205:206]
	v_add_f64 v[26:27], v[217:218], v[26:27]
	v_add_f64 v[32:33], v[213:214], v[32:33]
	v_fma_f64 v[213:214], v[119:120], s[18:19], v[203:204]
	v_fma_f64 v[203:204], v[119:120], s[18:19], -v[203:204]
	v_add_f64 v[36:37], v[205:206], v[36:37]
	v_add_f64 v[34:35], v[213:214], v[34:35]
	;; [unrolled: 1-line block ×3, first 2 shown]
	v_mul_lo_u16 v203, v207, 17
	s_and_saveexec_b32 s24, vcc_lo
	s_cbranch_execz .LBB0_7
; %bb.6:
	v_add_f64 v[66:67], v[66:67], v[50:51]
	v_add_f64 v[64:65], v[64:65], v[48:49]
	v_mul_f64 v[204:205], v[159:160], s[20:21]
	v_mul_f64 v[213:214], v[110:111], s[8:9]
	;; [unrolled: 1-line block ×4, first 2 shown]
	v_mov_b32_e32 v206, v225
	v_mov_b32_e32 v187, v203
	;; [unrolled: 1-line block ×16, first 2 shown]
	v_add_f64 v[66:67], v[70:71], v[66:67]
	v_add_f64 v[64:65], v[68:69], v[64:65]
	v_add_f64 v[215:216], v[215:216], -v[241:242]
	v_mul_f64 v[241:242], v[159:160], s[8:9]
	v_add_f64 v[66:67], v[74:75], v[66:67]
	v_add_f64 v[64:65], v[72:73], v[64:65]
	;; [unrolled: 1-line block ×6, first 2 shown]
	v_mul_f64 v[84:85], v[185:186], s[10:11]
	v_mul_f64 v[86:87], v[159:160], s[2:3]
	v_add_f64 v[66:67], v[66:67], v[90:91]
	v_add_f64 v[64:65], v[88:89], v[64:65]
	;; [unrolled: 1-line block ×3, first 2 shown]
	v_mul_f64 v[223:224], v[211:212], s[14:15]
	v_add_f64 v[66:67], v[66:67], v[94:95]
	v_add_f64 v[64:65], v[92:93], v[64:65]
	v_mul_f64 v[94:95], v[233:234], s[14:15]
	v_add_f64 v[223:224], v[239:240], v[223:224]
	v_mul_f64 v[239:240], v[185:186], s[20:21]
	v_mul_f64 v[92:93], v[135:136], s[8:9]
	v_add_f64 v[66:67], v[66:67], v[98:99]
	v_add_f64 v[64:65], v[64:65], v[96:97]
	v_add_f64 v[94:95], v[94:95], -v[143:144]
	v_mul_f64 v[143:144], v[159:160], s[14:15]
	v_mul_f64 v[98:99], v[181:182], s[10:11]
	v_add_f64 v[92:93], v[92:93], -v[179:180]
	v_mul_f64 v[179:180], v[135:136], s[2:3]
	v_mul_f64 v[96:97], v[209:210], s[18:19]
	v_add_f64 v[66:67], v[66:67], v[102:103]
	v_add_f64 v[64:65], v[64:65], v[100:101]
	v_mul_f64 v[100:101], v[155:156], s[2:3]
	v_add_f64 v[98:99], v[98:99], -v[221:222]
	v_mul_f64 v[221:222], v[108:109], s[8:9]
	v_add_f64 v[173:174], v[179:180], -v[173:174]
	;; [unrolled: 2-line block ×3, first 2 shown]
	v_mul_f64 v[229:230], v[209:210], s[10:11]
	v_add_f64 v[66:67], v[66:67], v[106:107]
	v_add_f64 v[64:65], v[64:65], v[104:105]
	v_mul_f64 v[106:107], v[137:138], s[2:3]
	v_add_f64 v[139:140], v[179:180], -v[139:140]
	v_mul_f64 v[179:180], v[209:210], s[8:9]
	v_add_f64 v[66:67], v[66:67], v[82:83]
	v_add_f64 v[64:65], v[64:65], v[80:81]
	;; [unrolled: 1-line block ×3, first 2 shown]
	v_mul_f64 v[177:178], v[253:254], s[22:23]
	v_mul_f64 v[82:83], v[112:113], s[2:3]
	v_add_f64 v[179:180], v[179:180], -v[245:246]
	v_mul_f64 v[245:246], v[209:210], s[14:15]
	v_mul_f64 v[209:210], v[209:210], s[20:21]
	v_add_f64 v[62:63], v[66:67], v[62:63]
	v_add_f64 v[60:61], v[64:65], v[60:61]
	v_add_f64 v[177:178], v[177:178], -v[195:196]
	v_mul_f64 v[195:196], v[155:156], s[14:15]
	v_add_f64 v[237:238], v[245:246], -v[237:238]
	v_mul_f64 v[245:246], v[181:182], s[20:21]
	v_add_f64 v[58:59], v[62:63], v[58:59]
	s_clause 0x13
	buffer_load_dword v62, off, s[56:59], 0 offset:96
	buffer_load_dword v63, off, s[56:59], 0 offset:100
	buffer_load_dword v64, off, s[56:59], 0 offset:88
	buffer_load_dword v65, off, s[56:59], 0 offset:92
	buffer_load_dword v66, off, s[56:59], 0 offset:80
	buffer_load_dword v67, off, s[56:59], 0 offset:84
	buffer_load_dword v68, off, s[56:59], 0 offset:72
	buffer_load_dword v69, off, s[56:59], 0 offset:76
	buffer_load_dword v70, off, s[56:59], 0 offset:64
	buffer_load_dword v71, off, s[56:59], 0 offset:68
	buffer_load_dword v72, off, s[56:59], 0 offset:56
	buffer_load_dword v73, off, s[56:59], 0 offset:60
	buffer_load_dword v74, off, s[56:59], 0 offset:48
	buffer_load_dword v75, off, s[56:59], 0 offset:52
	buffer_load_dword v76, off, s[56:59], 0 offset:40
	buffer_load_dword v77, off, s[56:59], 0 offset:44
	buffer_load_dword v78, off, s[56:59], 0 offset:32
	buffer_load_dword v79, off, s[56:59], 0 offset:36
	buffer_load_dword v80, off, s[56:59], 0 offset:24
	buffer_load_dword v81, off, s[56:59], 0 offset:28
	v_add_f64 v[56:57], v[60:61], v[56:57]
	v_mul_f64 v[60:61], v[114:115], s[22:23]
	buffer_store_dword v2, off, s[56:59], 0 offset:24 ; 4-byte Folded Spill
	buffer_store_dword v3, off, s[56:59], 0 offset:28 ; 4-byte Folded Spill
	s_clause 0xb
	buffer_load_dword v2, off, s[56:59], 0 offset:416
	buffer_load_dword v3, off, s[56:59], 0 offset:420
	;; [unrolled: 1-line block ×12, first 2 shown]
	v_add_f64 v[54:55], v[58:59], v[54:55]
	v_mul_f64 v[58:59], v[137:138], s[8:9]
	v_add_f64 v[52:53], v[56:57], v[52:53]
	v_mul_f64 v[56:57], v[119:120], s[16:17]
	;; [unrolled: 2-line block ×4, first 2 shown]
	s_waitcnt vmcnt(30)
	v_add_f64 v[60:61], v[62:63], v[60:61]
	v_mul_f64 v[62:63], v[112:113], s[22:23]
	s_waitcnt vmcnt(8)
	v_add_f64 v[82:83], v[82:83], -v[0:1]
	s_waitcnt vmcnt(6)
	v_add_f64 v[86:87], v[88:89], v[86:87]
	v_mul_f64 v[88:89], v[110:111], s[20:21]
	s_waitcnt vmcnt(2)
	v_add_f64 v[100:101], v[100:101], -v[102:103]
	v_mul_f64 v[102:103], v[108:109], s[20:21]
	v_add_f64 v[60:61], v[50:51], v[60:61]
	v_add_f64 v[62:63], v[62:63], -v[64:65]
	v_mul_f64 v[64:65], v[114:115], s[20:21]
	v_add_f64 v[88:89], v[90:91], v[88:89]
	v_mul_f64 v[90:91], v[253:254], s[16:17]
	s_waitcnt vmcnt(0)
	v_add_f64 v[102:103], v[102:103], -v[104:105]
	v_mul_f64 v[104:105], v[119:120], s[22:23]
	v_add_f64 v[62:63], v[48:49], v[62:63]
	v_add_f64 v[64:65], v[66:67], v[64:65]
	v_mul_f64 v[66:67], v[112:113], s[20:21]
	v_add_f64 v[60:61], v[88:89], v[60:61]
	v_add_f64 v[90:91], v[90:91], -v[199:200]
	v_mul_f64 v[199:200], v[211:212], s[16:17]
	v_add_f64 v[104:105], v[197:198], v[104:105]
	v_mul_f64 v[197:198], v[108:109], s[10:11]
	v_mul_f64 v[88:89], v[253:254], s[14:15]
	v_add_f64 v[62:63], v[102:103], v[62:63]
	v_add_f64 v[64:65], v[50:51], v[64:65]
	v_add_f64 v[66:67], v[66:67], -v[68:69]
	v_mul_f64 v[68:69], v[114:115], s[18:19]
	v_add_f64 v[60:61], v[86:87], v[60:61]
	v_mul_f64 v[86:87], v[119:120], s[10:11]
	v_add_f64 v[199:200], v[243:244], v[199:200]
	v_mul_f64 v[243:244], v[110:111], s[22:23]
	v_add_f64 v[88:89], v[88:89], -v[46:47]
	v_add_f64 v[62:63], v[100:101], v[62:63]
	v_add_f64 v[66:67], v[48:49], v[66:67]
	;; [unrolled: 1-line block ×3, first 2 shown]
	v_mul_f64 v[70:71], v[112:113], s[18:19]
	v_add_f64 v[60:61], v[84:85], v[60:61]
	v_mul_f64 v[84:85], v[253:254], s[10:11]
	v_add_f64 v[62:63], v[98:99], v[62:63]
	v_add_f64 v[68:69], v[50:51], v[68:69]
	v_add_f64 v[70:71], v[70:71], -v[72:73]
	v_mul_f64 v[72:73], v[114:115], s[16:17]
	v_add_f64 v[84:85], v[84:85], -v[6:7]
	v_add_f64 v[62:63], v[96:97], v[62:63]
	v_mul_f64 v[96:97], v[253:254], s[8:9]
	v_add_f64 v[70:71], v[48:49], v[70:71]
	v_add_f64 v[72:73], v[74:75], v[72:73]
	v_mul_f64 v[74:75], v[112:113], s[16:17]
	v_add_f64 v[62:63], v[94:95], v[62:63]
	v_mul_f64 v[94:95], v[119:120], s[8:9]
	v_add_f64 v[96:97], v[96:97], -v[190:191]
	v_add_f64 v[72:73], v[50:51], v[72:73]
	v_add_f64 v[74:75], v[74:75], -v[76:77]
	v_mul_f64 v[76:77], v[114:115], s[14:15]
	v_add_f64 v[74:75], v[48:49], v[74:75]
	v_add_f64 v[76:77], v[78:79], v[76:77]
	v_mul_f64 v[78:79], v[112:113], s[14:15]
	v_mul_f64 v[112:113], v[235:236], s[18:19]
	v_add_f64 v[76:77], v[50:51], v[76:77]
	v_add_f64 v[78:79], v[78:79], -v[80:81]
	v_mul_f64 v[80:81], v[114:115], s[2:3]
	v_mul_f64 v[114:115], v[211:212], s[8:9]
	v_add_f64 v[112:113], v[141:142], v[112:113]
	v_mul_f64 v[141:142], v[185:186], s[16:17]
	v_add_f64 v[78:79], v[48:49], v[78:79]
	v_add_f64 v[80:81], v[2:3], v[80:81]
	;; [unrolled: 1-line block ×3, first 2 shown]
	v_mov_b32_e32 v44, v147
	v_mov_b32_e32 v45, v148
	v_mov_b32_e32 v148, v118
	v_mov_b32_e32 v147, v117
	s_clause 0x1
	buffer_load_dword v117, off, s[56:59], 0 offset:272
	buffer_load_dword v118, off, s[56:59], 0 offset:276
	v_add_f64 v[141:142], v[219:220], v[141:142]
	v_mul_f64 v[219:220], v[155:156], s[20:21]
	v_mov_b32_e32 v0, v40
	v_mov_b32_e32 v1, v41
	v_mov_b32_e32 v2, v42
	v_mov_b32_e32 v3, v43
	v_mov_b32_e32 v40, v248
	v_mov_b32_e32 v41, v249
	v_mov_b32_e32 v42, v250
	v_mov_b32_e32 v43, v251
	v_mul_f64 v[247:248], v[155:156], s[8:9]
	v_mul_f64 v[249:250], v[108:109], s[22:23]
	;; [unrolled: 1-line block ×3, first 2 shown]
	v_add_f64 v[48:49], v[48:49], v[82:83]
	v_mul_f64 v[82:83], v[211:212], s[18:19]
	v_add_f64 v[50:51], v[50:51], v[80:81]
	v_mul_f64 v[80:81], v[235:236], s[14:15]
	v_mul_f64 v[211:212], v[211:212], s[20:21]
	v_add_f64 v[94:95], v[44:45], v[94:95]
	v_add_f64 v[231:232], v[231:232], v[251:252]
	v_mul_f64 v[251:252], v[185:186], s[8:9]
	v_add_f64 v[82:83], v[226:227], v[82:83]
	v_mul_f64 v[225:226], v[159:160], s[22:23]
	;; [unrolled: 2-line block ×3, first 2 shown]
	v_mul_f64 v[227:228], v[110:111], s[18:19]
	v_mul_f64 v[185:186], v[185:186], s[18:19]
	;; [unrolled: 1-line block ×4, first 2 shown]
	v_add_f64 v[60:61], v[82:83], v[60:61]
	v_mul_f64 v[82:83], v[119:120], s[2:3]
	v_add_f64 v[60:61], v[80:81], v[60:61]
	v_mul_f64 v[80:81], v[253:254], s[2:3]
	v_add_f64 v[82:83], v[193:194], v[82:83]
	v_add_f64 v[58:59], v[58:59], v[60:61]
	;; [unrolled: 1-line block ×3, first 2 shown]
	v_add_f64 v[80:81], v[80:81], -v[175:176]
	v_add_f64 v[46:47], v[56:57], v[58:59]
	v_add_f64 v[44:45], v[90:91], v[60:61]
	s_waitcnt vmcnt(0)
	v_add_f64 v[143:144], v[117:118], v[143:144]
	s_clause 0x1
	buffer_load_dword v117, off, s[56:59], 0 offset:176
	buffer_load_dword v118, off, s[56:59], 0 offset:180
	s_waitcnt vmcnt(0)
	v_add_f64 v[149:150], v[117:118], v[149:150]
	s_clause 0x1
	buffer_load_dword v117, off, s[56:59], 0 offset:360
	buffer_load_dword v118, off, s[56:59], 0 offset:364
	v_add_f64 v[64:65], v[149:150], v[64:65]
	v_add_f64 v[64:65], v[143:144], v[64:65]
	;; [unrolled: 1-line block ×6, first 2 shown]
	s_waitcnt vmcnt(0)
	v_add_f64 v[183:184], v[183:184], -v[117:118]
	s_clause 0x1
	buffer_load_dword v117, off, s[56:59], 0 offset:264
	buffer_load_dword v118, off, s[56:59], 0 offset:268
	s_waitcnt vmcnt(0)
	v_add_f64 v[195:196], v[195:196], -v[117:118]
	s_clause 0x1
	buffer_load_dword v117, off, s[56:59], 0 offset:168
	buffer_load_dword v118, off, s[56:59], 0 offset:172
	;; [unrolled: 5-line block ×3, first 2 shown]
	v_add_f64 v[66:67], v[197:198], v[66:67]
	v_add_f64 v[66:67], v[195:196], v[66:67]
	;; [unrolled: 1-line block ×6, first 2 shown]
	s_waitcnt vmcnt(0)
	v_add_f64 v[201:202], v[117:118], v[201:202]
	s_clause 0x1
	buffer_load_dword v117, off, s[56:59], 0 offset:256
	buffer_load_dword v118, off, s[56:59], 0 offset:260
	s_waitcnt vmcnt(0)
	v_add_f64 v[204:205], v[117:118], v[204:205]
	s_clause 0x1
	buffer_load_dword v117, off, s[56:59], 0 offset:160
	buffer_load_dword v118, off, s[56:59], 0 offset:164
	;; [unrolled: 5-line block ×3, first 2 shown]
	v_add_f64 v[68:69], v[213:214], v[68:69]
	v_add_f64 v[68:69], v[204:205], v[68:69]
	;; [unrolled: 1-line block ×4, first 2 shown]
	s_waitcnt vmcnt(0)
	v_add_f64 v[217:218], v[217:218], -v[117:118]
	s_clause 0x1
	buffer_load_dword v117, off, s[56:59], 0 offset:248
	buffer_load_dword v118, off, s[56:59], 0 offset:252
	s_waitcnt vmcnt(0)
	v_add_f64 v[219:220], v[219:220], -v[117:118]
	s_clause 0x1
	buffer_load_dword v117, off, s[56:59], 0 offset:152
	buffer_load_dword v118, off, s[56:59], 0 offset:156
	;; [unrolled: 5-line block ×3, first 2 shown]
	v_add_f64 v[70:71], v[221:222], v[70:71]
	v_add_f64 v[70:71], v[219:220], v[70:71]
	;; [unrolled: 1-line block ×4, first 2 shown]
	s_waitcnt vmcnt(0)
	v_add_f64 v[239:240], v[117:118], v[239:240]
	s_clause 0x1
	buffer_load_dword v117, off, s[56:59], 0 offset:240
	buffer_load_dword v118, off, s[56:59], 0 offset:244
	s_waitcnt vmcnt(0)
	v_add_f64 v[241:242], v[117:118], v[241:242]
	s_clause 0x1
	buffer_load_dword v117, off, s[56:59], 0 offset:144
	buffer_load_dword v118, off, s[56:59], 0 offset:148
	;; [unrolled: 5-line block ×3, first 2 shown]
	v_add_f64 v[72:73], v[243:244], v[72:73]
	v_add_f64 v[72:73], v[241:242], v[72:73]
	;; [unrolled: 1-line block ×4, first 2 shown]
	s_waitcnt vmcnt(0)
	v_add_f64 v[245:246], v[245:246], -v[117:118]
	s_clause 0x1
	buffer_load_dword v117, off, s[56:59], 0 offset:232
	buffer_load_dword v118, off, s[56:59], 0 offset:236
	s_waitcnt vmcnt(0)
	v_add_f64 v[247:248], v[247:248], -v[117:118]
	s_clause 0x1
	buffer_load_dword v117, off, s[56:59], 0 offset:136
	buffer_load_dword v118, off, s[56:59], 0 offset:140
	;; [unrolled: 5-line block ×3, first 2 shown]
	v_add_f64 v[74:75], v[249:250], v[74:75]
	v_add_f64 v[74:75], v[247:248], v[74:75]
	;; [unrolled: 1-line block ×4, first 2 shown]
	s_waitcnt vmcnt(0)
	v_add_f64 v[251:252], v[117:118], v[251:252]
	s_clause 0x1
	buffer_load_dword v117, off, s[56:59], 0 offset:224
	buffer_load_dword v118, off, s[56:59], 0 offset:228
	s_waitcnt vmcnt(0)
	v_add_f64 v[225:226], v[117:118], v[225:226]
	s_clause 0x1
	buffer_load_dword v117, off, s[56:59], 0 offset:128
	buffer_load_dword v118, off, s[56:59], 0 offset:132
	;; [unrolled: 5-line block ×3, first 2 shown]
	buffer_load_dword v121, off, s[56:59], 0 offset:312
	buffer_load_dword v122, off, s[56:59], 0 offset:316
	;; [unrolled: 1-line block ×6, first 2 shown]
	v_add_f64 v[76:77], v[227:228], v[76:77]
	v_add_f64 v[76:77], v[225:226], v[76:77]
	v_mov_b32_e32 v225, v206
	v_add_f64 v[76:77], v[251:252], v[76:77]
	v_mov_b32_e32 v251, v43
	v_mov_b32_e32 v250, v42
	;; [unrolled: 1-line block ×4, first 2 shown]
	v_add_f64 v[76:77], v[231:232], v[76:77]
	s_waitcnt vmcnt(6)
	v_add_f64 v[229:230], v[229:230], -v[117:118]
	v_mul_f64 v[117:118], v[181:182], s[8:9]
	v_mul_f64 v[181:182], v[181:182], s[18:19]
	s_waitcnt vmcnt(4)
	v_add_f64 v[117:118], v[117:118], -v[121:122]
	v_mul_f64 v[121:122], v[155:156], s[22:23]
	v_mul_f64 v[155:156], v[155:156], s[16:17]
	;; [unrolled: 4-line block ×3, first 2 shown]
	s_waitcnt vmcnt(0)
	v_add_f64 v[123:124], v[123:124], -v[125:126]
	s_clause 0x1
	buffer_load_dword v125, off, s[56:59], 0 offset:304
	buffer_load_dword v126, off, s[56:59], 0 offset:308
	v_add_f64 v[78:79], v[123:124], v[78:79]
	v_add_f64 v[78:79], v[121:122], v[78:79]
	;; [unrolled: 1-line block ×4, first 2 shown]
	s_waitcnt vmcnt(0)
	v_add_f64 v[185:186], v[125:126], v[185:186]
	s_clause 0x1
	buffer_load_dword v125, off, s[56:59], 0 offset:208
	buffer_load_dword v126, off, s[56:59], 0 offset:212
	s_waitcnt vmcnt(0)
	v_add_f64 v[159:160], v[125:126], v[159:160]
	s_clause 0x1
	buffer_load_dword v125, off, s[56:59], 0 offset:112
	buffer_load_dword v126, off, s[56:59], 0 offset:116
	;; [unrolled: 5-line block ×3, first 2 shown]
	v_add_f64 v[50:51], v[110:111], v[50:51]
	v_add_f64 v[50:51], v[159:160], v[50:51]
	;; [unrolled: 1-line block ×3, first 2 shown]
	s_waitcnt vmcnt(0)
	v_add_f64 v[181:182], v[181:182], -v[125:126]
	s_clause 0x1
	buffer_load_dword v125, off, s[56:59], 0 offset:104
	buffer_load_dword v126, off, s[56:59], 0 offset:108
	s_waitcnt vmcnt(0)
	v_add_f64 v[108:109], v[108:109], -v[125:126]
	s_clause 0x1
	buffer_load_dword v125, off, s[56:59], 0 offset:200
	buffer_load_dword v126, off, s[56:59], 0 offset:204
	v_add_f64 v[48:49], v[108:109], v[48:49]
	s_waitcnt vmcnt(0)
	v_add_f64 v[155:156], v[155:156], -v[125:126]
	s_clause 0x1
	buffer_load_dword v125, off, s[56:59], 0 offset:376
	buffer_load_dword v126, off, s[56:59], 0 offset:380
	v_add_f64 v[48:49], v[155:156], v[48:49]
	v_add_f64 v[48:49], v[181:182], v[48:49]
	s_waitcnt vmcnt(0)
	v_add_f64 v[211:212], v[125:126], v[211:212]
	s_clause 0x1
	buffer_load_dword v125, off, s[56:59], 0 offset:368
	buffer_load_dword v126, off, s[56:59], 0 offset:372
	v_add_f64 v[50:51], v[211:212], v[50:51]
	s_waitcnt vmcnt(0)
	v_add_f64 v[209:210], v[209:210], -v[125:126]
	v_mul_f64 v[125:126], v[235:236], s[10:11]
	v_add_f64 v[48:49], v[209:210], v[48:49]
	v_add_f64 v[125:126], v[133:134], v[125:126]
	v_mul_f64 v[133:134], v[233:234], s[10:11]
	v_add_f64 v[68:69], v[125:126], v[68:69]
	v_add_f64 v[131:132], v[133:134], -v[131:132]
	v_mul_f64 v[133:134], v[235:236], s[2:3]
	v_add_f64 v[70:71], v[131:132], v[70:71]
	v_add_f64 v[129:130], v[129:130], v[133:134]
	v_mul_f64 v[133:134], v[233:234], s[2:3]
	v_add_f64 v[72:73], v[129:130], v[72:73]
	v_add_f64 v[127:128], v[133:134], -v[127:128]
	v_mul_f64 v[133:134], v[235:236], s[20:21]
	v_mul_f64 v[235:236], v[235:236], s[22:23]
	v_add_f64 v[74:75], v[127:128], v[74:75]
	v_add_f64 v[133:134], v[145:146], v[133:134]
	;; [unrolled: 1-line block ×3, first 2 shown]
	v_mul_f64 v[151:152], v[119:120], s[14:15]
	v_mul_f64 v[145:146], v[233:234], s[20:21]
	;; [unrolled: 1-line block ×3, first 2 shown]
	v_add_f64 v[76:77], v[133:134], v[76:77]
	v_add_f64 v[50:51], v[235:236], v[50:51]
	;; [unrolled: 1-line block ×3, first 2 shown]
	s_clause 0x5
	buffer_load_dword v4, off, s[56:59], 0 offset:24
	buffer_load_dword v5, off, s[56:59], 0 offset:28
	buffer_load_dword v40, off, s[56:59], 0 offset:392
	buffer_load_dword v41, off, s[56:59], 0 offset:396
	buffer_load_dword v42, off, s[56:59], 0 offset:400
	buffer_load_dword v43, off, s[56:59], 0 offset:404
	v_add_f64 v[233:234], v[233:234], -v[147:148]
	v_mul_f64 v[147:148], v[137:138], s[22:23]
	v_add_f64 v[145:146], v[145:146], -v[153:154]
	v_mov_b32_e32 v153, v157
	v_add_f64 v[48:49], v[233:234], v[48:49]
	v_add_f64 v[147:148], v[169:170], v[147:148]
	v_mul_f64 v[169:170], v[135:136], s[22:23]
	v_add_f64 v[78:79], v[145:146], v[78:79]
	v_add_f64 v[64:65], v[147:148], v[68:69]
	v_add_f64 v[167:168], v[169:170], -v[167:168]
	v_mul_f64 v[169:170], v[137:138], s[18:19]
	v_add_f64 v[70:71], v[167:168], v[70:71]
	v_add_f64 v[165:166], v[165:166], v[169:170]
	v_mul_f64 v[169:170], v[135:136], s[18:19]
	v_add_f64 v[68:69], v[165:166], v[72:73]
	v_add_f64 v[163:164], v[169:170], -v[163:164]
	v_mul_f64 v[169:170], v[137:138], s[16:17]
	v_mul_f64 v[137:138], v[137:138], s[10:11]
	v_add_f64 v[74:75], v[163:164], v[74:75]
	v_add_f64 v[161:162], v[161:162], v[169:170]
	v_mul_f64 v[169:170], v[135:136], s[16:17]
	v_mul_f64 v[135:136], v[135:136], s[10:11]
	v_add_f64 v[137:138], v[188:189], v[137:138]
	v_add_f64 v[56:57], v[84:85], v[74:75]
	;; [unrolled: 1-line block ×3, first 2 shown]
	v_add_f64 v[157:158], v[169:170], -v[171:172]
	v_add_f64 v[135:136], v[135:136], -v[207:208]
	v_mov_b32_e32 v207, v203
	v_mov_b32_e32 v203, v187
	v_add_f64 v[76:77], v[137:138], v[50:51]
	v_add_f64 v[50:51], v[104:105], v[62:63]
	v_and_b32_e32 v102, 0xffff, v203
	v_add_f64 v[62:63], v[82:83], v[72:73]
	v_add_f64 v[78:79], v[157:158], v[78:79]
	;; [unrolled: 1-line block ×5, first 2 shown]
	s_waitcnt vmcnt(4)
	v_add_f64 v[86:87], v[4:5], v[86:87]
	s_waitcnt vmcnt(0)
	v_add_f64 v[98:99], v[54:55], v[42:43]
	v_add_f64 v[100:101], v[52:53], v[40:41]
	;; [unrolled: 1-line block ×7, first 2 shown]
	v_add_lshl_u32 v68, v153, v102, 4
	ds_write_b128 v68, v[24:27] offset:112
	ds_write_b128 v68, v[32:35] offset:128
	;; [unrolled: 1-line block ×8, first 2 shown]
	v_add_f64 v[42:43], v[98:99], v[2:3]
	v_add_f64 v[40:41], v[100:101], v[0:1]
	s_clause 0x3
	buffer_load_dword v0, off, s[56:59], 0
	buffer_load_dword v1, off, s[56:59], 0 offset:4
	buffer_load_dword v2, off, s[56:59], 0 offset:8
	;; [unrolled: 1-line block ×3, first 2 shown]
	s_waitcnt vmcnt(0)
	ds_write_b128 v68, v[0:3] offset:240
	ds_write_b128 v68, v[64:67] offset:16
	;; [unrolled: 1-line block ×7, first 2 shown]
	ds_write_b128 v68, v[40:43]
	ds_write_b128 v68, v[248:251] offset:256
.LBB0_7:
	s_or_b32 exec_lo, exec_lo, s24
	v_mul_u32_u24_e32 v40, 6, v207
	s_load_dwordx4 s[0:3], s[0:1], 0x0
	s_waitcnt lgkmcnt(0)
	s_waitcnt_vscnt null, 0x0
	s_barrier
	buffer_gl0_inv
	v_lshlrev_b32_e32 v52, 4, v40
	v_add_lshl_u32 v186, v153, v207, 4
	s_mov_b32 s8, 0x36b3c0b5
	s_mov_b32 s10, 0xe976ee23
	;; [unrolled: 1-line block ×3, first 2 shown]
	s_clause 0x5
	global_load_dwordx4 v[44:47], v52, s[4:5]
	global_load_dwordx4 v[40:43], v52, s[4:5] offset:16
	global_load_dwordx4 v[48:51], v52, s[4:5] offset:80
	;; [unrolled: 1-line block ×5, first 2 shown]
	ds_read_b128 v[64:67], v186 offset:272
	ds_read_b128 v[68:71], v186 offset:544
	;; [unrolled: 1-line block ×6, first 2 shown]
	s_mov_b32 s4, 0x37e14327
	s_mov_b32 s5, 0x3fe948f6
	;; [unrolled: 1-line block ×7, first 2 shown]
	v_lshl_add_u32 v185, v207, 4, v225
	s_waitcnt vmcnt(5) lgkmcnt(5)
	v_mul_f64 v[88:89], v[66:67], v[46:47]
	v_mul_f64 v[90:91], v[64:65], v[46:47]
	s_waitcnt vmcnt(4) lgkmcnt(4)
	v_mul_f64 v[92:93], v[70:71], v[42:43]
	v_mul_f64 v[94:95], v[68:69], v[42:43]
	;; [unrolled: 3-line block ×6, first 2 shown]
	v_fma_f64 v[64:65], v[64:65], v[44:45], -v[88:89]
	v_fma_f64 v[66:67], v[66:67], v[44:45], v[90:91]
	v_fma_f64 v[68:69], v[68:69], v[40:41], -v[92:93]
	v_fma_f64 v[70:71], v[70:71], v[40:41], v[94:95]
	;; [unrolled: 2-line block ×6, first 2 shown]
	v_add_f64 v[88:89], v[64:65], v[72:73]
	v_add_f64 v[90:91], v[66:67], v[74:75]
	;; [unrolled: 1-line block ×4, first 2 shown]
	v_add_f64 v[68:69], v[68:69], -v[76:77]
	v_add_f64 v[70:71], v[70:71], -v[78:79]
	v_add_f64 v[96:97], v[80:81], v[84:85]
	v_add_f64 v[98:99], v[82:83], v[86:87]
	v_add_f64 v[76:77], v[84:85], -v[80:81]
	v_add_f64 v[78:79], v[86:87], -v[82:83]
	;; [unrolled: 1-line block ×4, first 2 shown]
	ds_read_b128 v[64:67], v186
	v_add_f64 v[80:81], v[92:93], v[88:89]
	v_add_f64 v[82:83], v[94:95], v[90:91]
	v_add_f64 v[84:85], v[88:89], -v[96:97]
	v_add_f64 v[86:87], v[90:91], -v[98:99]
	;; [unrolled: 1-line block ×10, first 2 shown]
	v_add_f64 v[68:69], v[76:77], v[68:69]
	v_add_f64 v[70:71], v[78:79], v[70:71]
	v_add_f64 v[76:77], v[72:73], -v[76:77]
	v_add_f64 v[78:79], v[74:75], -v[78:79]
	v_add_f64 v[80:81], v[96:97], v[80:81]
	v_add_f64 v[82:83], v[98:99], v[82:83]
	v_mul_f64 v[84:85], v[84:85], s[4:5]
	v_mul_f64 v[86:87], v[86:87], s[4:5]
	s_mov_b32 s4, 0x429ad128
	v_mul_f64 v[92:93], v[100:101], s[8:9]
	v_mul_f64 v[94:95], v[102:103], s[8:9]
	v_mul_f64 v[96:97], v[104:105], s[10:11]
	v_mul_f64 v[98:99], v[106:107], s[10:11]
	s_mov_b32 s5, 0x3febfeb5
	s_mov_b32 s10, 0xaaaaaaaa
	v_mul_f64 v[104:105], v[108:109], s[4:5]
	v_mul_f64 v[106:107], v[110:111], s[4:5]
	s_mov_b32 s11, 0xbff2aaaa
	v_add_f64 v[68:69], v[68:69], v[72:73]
	v_add_f64 v[70:71], v[70:71], v[74:75]
	s_waitcnt lgkmcnt(0)
	v_add_f64 v[64:65], v[64:65], v[80:81]
	v_add_f64 v[66:67], v[66:67], v[82:83]
	v_fma_f64 v[72:73], v[100:101], s[8:9], v[84:85]
	v_fma_f64 v[74:75], v[102:103], s[8:9], v[86:87]
	v_fma_f64 v[92:93], v[88:89], s[14:15], -v[92:93]
	v_fma_f64 v[94:95], v[90:91], s[14:15], -v[94:95]
	s_mov_b32 s15, 0xbfe77f67
	v_fma_f64 v[100:101], v[76:77], s[16:17], v[96:97]
	v_fma_f64 v[102:103], v[78:79], s[16:17], v[98:99]
	s_mov_b32 s17, 0xbfd5d0dc
	v_fma_f64 v[96:97], v[108:109], s[4:5], -v[96:97]
	v_fma_f64 v[98:99], v[110:111], s[4:5], -v[98:99]
	;; [unrolled: 1-line block ×6, first 2 shown]
	s_mov_b32 s4, 0x37c3f68c
	s_mov_b32 s5, 0x3fdc38aa
	v_fma_f64 v[80:81], v[80:81], s[10:11], v[64:65]
	v_fma_f64 v[82:83], v[82:83], s[10:11], v[66:67]
	;; [unrolled: 1-line block ×8, first 2 shown]
	v_add_f64 v[104:105], v[72:73], v[80:81]
	v_add_f64 v[106:107], v[74:75], v[82:83]
	;; [unrolled: 1-line block ×7, first 2 shown]
	v_add_f64 v[90:91], v[106:107], -v[100:101]
	v_add_f64 v[84:85], v[70:71], v[72:73]
	v_add_f64 v[86:87], v[74:75], -v[68:69]
	v_add_f64 v[80:81], v[76:77], -v[98:99]
	v_add_f64 v[82:83], v[96:97], v[78:79]
	v_add_f64 v[76:77], v[98:99], v[76:77]
	v_add_f64 v[78:79], v[78:79], -v[96:97]
	v_add_f64 v[72:73], v[72:73], -v[70:71]
	v_add_f64 v[74:75], v[68:69], v[74:75]
	v_add_f64 v[68:69], v[104:105], -v[102:103]
	v_add_f64 v[70:71], v[100:101], v[106:107]
	ds_write_b128 v185, v[64:67]
	ds_write_b128 v185, v[88:91] offset:272
	ds_write_b128 v185, v[84:87] offset:544
	;; [unrolled: 1-line block ×6, first 2 shown]
	s_waitcnt lgkmcnt(0)
	s_barrier
	buffer_gl0_inv
	s_and_saveexec_b32 s8, vcc_lo
	s_cbranch_execz .LBB0_9
; %bb.8:
	global_load_dwordx4 v[96:99], v255, s[6:7] offset:1904
	ds_read_b128 v[92:95], v185
	s_add_u32 s4, s6, 0x770
	s_addc_u32 s5, s7, 0
	s_waitcnt vmcnt(0) lgkmcnt(0)
	v_mul_f64 v[100:101], v[94:95], v[98:99]
	v_fma_f64 v[100:101], v[92:93], v[96:97], -v[100:101]
	v_mul_f64 v[92:93], v[92:93], v[98:99]
	v_fma_f64 v[102:103], v[94:95], v[96:97], v[92:93]
	global_load_dwordx4 v[96:99], v255, s[4:5] offset:112
	ds_read_b128 v[92:95], v185 offset:112
	ds_write_b128 v185, v[100:103]
	s_waitcnt vmcnt(0) lgkmcnt(1)
	v_mul_f64 v[100:101], v[94:95], v[98:99]
	v_fma_f64 v[100:101], v[92:93], v[96:97], -v[100:101]
	v_mul_f64 v[92:93], v[92:93], v[98:99]
	v_fma_f64 v[102:103], v[94:95], v[96:97], v[92:93]
	global_load_dwordx4 v[96:99], v255, s[4:5] offset:224
	ds_read_b128 v[92:95], v185 offset:224
	ds_write_b128 v185, v[100:103] offset:112
	s_waitcnt vmcnt(0) lgkmcnt(1)
	v_mul_f64 v[100:101], v[94:95], v[98:99]
	v_fma_f64 v[100:101], v[92:93], v[96:97], -v[100:101]
	v_mul_f64 v[92:93], v[92:93], v[98:99]
	v_fma_f64 v[102:103], v[94:95], v[96:97], v[92:93]
	global_load_dwordx4 v[96:99], v255, s[4:5] offset:336
	ds_read_b128 v[92:95], v185 offset:336
	ds_write_b128 v185, v[100:103] offset:224
	;; [unrolled: 8-line block ×15, first 2 shown]
	s_waitcnt vmcnt(0) lgkmcnt(1)
	v_mul_f64 v[100:101], v[94:95], v[98:99]
	v_fma_f64 v[100:101], v[92:93], v[96:97], -v[100:101]
	v_mul_f64 v[92:93], v[92:93], v[98:99]
	v_fma_f64 v[102:103], v[94:95], v[96:97], v[92:93]
	ds_write_b128 v185, v[100:103] offset:1792
.LBB0_9:
	s_or_b32 exec_lo, exec_lo, s8
	s_waitcnt lgkmcnt(0)
	s_barrier
	buffer_gl0_inv
	s_and_saveexec_b32 s4, vcc_lo
	s_cbranch_execz .LBB0_11
; %bb.10:
	ds_read_b128 v[64:67], v185
	ds_read_b128 v[88:91], v185 offset:112
	ds_read_b128 v[84:87], v185 offset:224
	;; [unrolled: 1-line block ×15, first 2 shown]
	s_waitcnt lgkmcnt(0)
	buffer_store_dword v0, off, s[56:59], 0 ; 4-byte Folded Spill
	buffer_store_dword v1, off, s[56:59], 0 offset:4 ; 4-byte Folded Spill
	buffer_store_dword v2, off, s[56:59], 0 offset:8 ; 4-byte Folded Spill
	;; [unrolled: 1-line block ×3, first 2 shown]
	ds_read_b128 v[248:251], v185 offset:1792
.LBB0_11:
	s_or_b32 exec_lo, exec_lo, s4
	s_waitcnt lgkmcnt(0)
	s_waitcnt_vscnt null, 0x0
	s_barrier
	buffer_gl0_inv
	s_and_saveexec_b32 s33, vcc_lo
	s_cbranch_execz .LBB0_13
; %bb.12:
	s_clause 0x3
	buffer_load_dword v0, off, s[56:59], 0
	buffer_load_dword v1, off, s[56:59], 0 offset:4
	buffer_load_dword v2, off, s[56:59], 0 offset:8
	;; [unrolled: 1-line block ×3, first 2 shown]
	v_add_f64 v[129:130], v[88:89], -v[248:249]
	v_add_f64 v[139:140], v[90:91], -v[250:251]
	s_mov_b32 s8, 0xacd6c6b4
	s_mov_b32 s9, 0xbfc7851a
	v_add_f64 v[131:132], v[90:91], v[250:251]
	v_add_f64 v[133:134], v[88:89], v[248:249]
	s_mov_b32 s14, 0x4363dd80
	s_mov_b32 s15, 0xbfe0d888
	;; [unrolled: 1-line block ×6, first 2 shown]
	v_add_f64 v[161:162], v[80:81], -v[8:9]
	v_add_f64 v[165:166], v[82:83], -v[10:11]
	s_mov_b32 s10, 0x7c9e640b
	s_mov_b32 s24, 0x910ea3b9
	;; [unrolled: 1-line block ×6, first 2 shown]
	v_add_f64 v[143:144], v[76:77], -v[12:13]
	v_add_f64 v[155:156], v[82:83], v[10:11]
	v_mul_f64 v[92:93], v[129:130], s[8:9]
	v_mul_f64 v[94:95], v[139:140], s[8:9]
	;; [unrolled: 1-line block ×4, first 2 shown]
	v_add_f64 v[177:178], v[78:79], -v[14:15]
	v_add_f64 v[163:164], v[80:81], v[8:9]
	s_mov_b32 s54, 0xeb564b22
	s_mov_b32 s4, 0x2b2883cd
	;; [unrolled: 1-line block ×6, first 2 shown]
	v_mul_f64 v[112:113], v[161:162], s[14:15]
	v_mul_f64 v[114:115], v[165:166], s[14:15]
	;; [unrolled: 1-line block ×3, first 2 shown]
	s_mov_b32 s42, 0x2a9d6da3
	s_mov_b32 s43, 0x3fe58eea
	v_add_f64 v[127:128], v[72:73], -v[16:17]
	v_add_f64 v[153:154], v[78:79], v[14:15]
	v_add_f64 v[175:176], v[74:75], -v[18:19]
	v_add_f64 v[159:160], v[76:77], v[12:13]
	v_mul_f64 v[157:158], v[143:144], s[42:43]
	v_fma_f64 v[104:105], v[131:132], s[18:19], v[92:93]
	v_fma_f64 v[106:107], v[133:134], s[18:19], -v[94:95]
	v_fma_f64 v[92:93], v[131:132], s[18:19], -v[92:93]
	v_fma_f64 v[94:95], v[133:134], s[18:19], v[94:95]
	v_fma_f64 v[110:111], v[131:132], s[24:25], v[96:97]
	v_fma_f64 v[141:142], v[133:134], s[24:25], -v[98:99]
	v_mul_f64 v[187:188], v[165:166], s[30:31]
	v_mul_f64 v[173:174], v[177:178], s[42:43]
	s_mov_b32 s16, 0x3259b75e
	s_mov_b32 s20, 0x6c9a05f6
	;; [unrolled: 1-line block ×4, first 2 shown]
	v_fma_f64 v[179:180], v[155:156], s[24:25], v[112:113]
	v_fma_f64 v[189:190], v[163:164], s[24:25], -v[114:115]
	s_mov_b32 s47, 0x3fe9895b
	s_mov_b32 s46, s20
	v_fma_f64 v[112:113], v[155:156], s[24:25], -v[112:113]
	v_fma_f64 v[114:115], v[163:164], s[24:25], v[114:115]
	s_mov_b32 s38, 0x75d4884
	s_mov_b32 s39, 0x3fe7a5f6
	v_add_f64 v[125:126], v[68:69], -v[20:21]
	v_add_f64 v[123:124], v[74:75], v[18:19]
	v_add_f64 v[104:105], v[66:67], v[104:105]
	;; [unrolled: 1-line block ×7, first 2 shown]
	v_add_f64 v[171:172], v[70:71], -v[22:23]
	v_mul_f64 v[191:192], v[177:178], s[46:47]
	v_fma_f64 v[193:194], v[163:164], s[16:17], -v[187:188]
	v_mul_f64 v[195:196], v[175:176], s[20:21]
	v_fma_f64 v[197:198], v[153:154], s[38:39], v[157:158]
	v_fma_f64 v[199:200], v[159:160], s[38:39], -v[173:174]
	s_mov_b32 s41, 0xbfd71e95
	s_mov_b32 s40, s28
	v_fma_f64 v[201:202], v[153:154], s[38:39], -v[157:158]
	v_add_f64 v[121:122], v[24:25], -v[28:29]
	v_add_f64 v[157:158], v[68:69], v[20:21]
	v_mul_f64 v[204:205], v[175:176], s[40:41]
	v_fma_f64 v[96:97], v[131:132], s[24:25], -v[96:97]
	s_mov_b32 s36, 0x923c349f
	s_mov_b32 s37, 0xbfeec746
	v_add_f64 v[119:120], v[32:33], -v[36:37]
	s_mov_b32 s34, 0xc61f0d01
	s_mov_b32 s35, 0xbfd183b1
	v_add_f64 v[117:118], v[34:35], v[38:39]
	v_mov_b32_e32 v206, v225
	v_mul_f64 v[224:225], v[129:130], s[20:21]
	v_fma_f64 v[98:99], v[133:134], s[24:25], v[98:99]
	v_mul_f64 v[210:211], v[171:172], s[10:11]
	v_fma_f64 v[208:209], v[159:160], s[22:23], -v[191:192]
	s_mov_b32 s45, 0x3feec746
	s_mov_b32 s44, s36
	v_mul_f64 v[236:237], v[129:130], s[36:37]
	s_mov_b32 s49, 0x3fe0d888
	s_mov_b32 s48, s14
	;; [unrolled: 1-line block ×6, first 2 shown]
	v_add_f64 v[90:91], v[90:91], v[66:67]
	v_add_f64 v[96:97], v[66:67], v[96:97]
	;; [unrolled: 1-line block ×3, first 2 shown]
	v_fma_f64 v[220:221], v[157:158], s[4:5], -v[210:211]
	s_waitcnt vmcnt(2)
	v_add_f64 v[135:136], v[84:85], -v[0:1]
	s_waitcnt vmcnt(0)
	v_add_f64 v[137:138], v[86:87], -v[2:3]
	v_add_f64 v[145:146], v[86:87], v[2:3]
	v_add_f64 v[167:168], v[84:85], v[0:1]
	;; [unrolled: 1-line block ×3, first 2 shown]
	v_mul_f64 v[100:101], v[135:136], s[28:29]
	v_mul_f64 v[102:103], v[137:138], s[28:29]
	;; [unrolled: 1-line block ×4, first 2 shown]
	v_add_f64 v[82:83], v[82:83], v[86:87]
	v_fma_f64 v[147:148], v[145:146], s[26:27], v[100:101]
	v_fma_f64 v[149:150], v[167:168], s[26:27], -v[102:103]
	v_fma_f64 v[100:101], v[145:146], s[26:27], -v[100:101]
	v_fma_f64 v[102:103], v[167:168], s[26:27], v[102:103]
	v_fma_f64 v[151:152], v[145:146], s[4:5], v[108:109]
	v_fma_f64 v[169:170], v[167:168], s[4:5], -v[181:182]
	v_fma_f64 v[108:109], v[145:146], s[4:5], -v[108:109]
	v_fma_f64 v[181:182], v[167:168], s[4:5], v[181:182]
	v_add_f64 v[78:79], v[78:79], v[82:83]
	v_add_f64 v[104:105], v[147:148], v[104:105]
	;; [unrolled: 1-line block ×4, first 2 shown]
	v_mul_f64 v[100:101], v[143:144], s[46:47]
	v_fma_f64 v[147:148], v[155:156], s[16:17], v[183:184]
	v_add_f64 v[94:95], v[102:103], v[94:95]
	v_add_f64 v[102:103], v[151:152], v[110:111]
	;; [unrolled: 1-line block ×3, first 2 shown]
	v_mul_f64 v[110:111], v[127:128], s[20:21]
	v_add_f64 v[169:170], v[169:170], v[141:142]
	v_add_f64 v[151:152], v[70:71], v[22:23]
	;; [unrolled: 1-line block ×3, first 2 shown]
	v_fma_f64 v[183:184], v[155:156], s[16:17], -v[183:184]
	v_add_f64 v[96:97], v[108:109], v[96:97]
	v_add_f64 v[181:182], v[181:182], v[98:99]
	;; [unrolled: 1-line block ×6, first 2 shown]
	v_mul_f64 v[112:113], v[127:128], s[40:41]
	v_fma_f64 v[179:180], v[159:160], s[38:39], v[173:174]
	v_fma_f64 v[189:190], v[153:154], s[22:23], v[100:101]
	v_add_f64 v[94:95], v[114:115], v[94:95]
	v_add_f64 v[102:103], v[147:148], v[102:103]
	v_add_f64 v[173:174], v[26:27], -v[30:31]
	v_mul_f64 v[114:115], v[125:126], s[10:11]
	v_add_f64 v[193:194], v[193:194], v[169:170]
	v_fma_f64 v[212:213], v[123:124], s[22:23], v[110:111]
	v_fma_f64 v[214:215], v[149:150], s[22:23], -v[195:196]
	v_fma_f64 v[110:111], v[123:124], s[22:23], -v[110:111]
	v_fma_f64 v[195:196], v[149:150], s[22:23], v[195:196]
	v_add_f64 v[169:170], v[24:25], v[28:29]
	v_fma_f64 v[216:217], v[149:150], s[26:27], -v[204:205]
	v_add_f64 v[147:148], v[32:33], v[36:37]
	v_fma_f64 v[100:101], v[153:154], s[22:23], -v[100:101]
	v_add_f64 v[96:97], v[183:184], v[96:97]
	v_mul_f64 v[183:184], v[161:162], s[40:41]
	v_add_f64 v[70:71], v[74:75], v[70:71]
	v_add_f64 v[104:105], v[197:198], v[104:105]
	;; [unrolled: 1-line block ×4, first 2 shown]
	v_mul_f64 v[197:198], v[125:126], s[8:9]
	v_fma_f64 v[199:200], v[123:124], s[26:27], v[112:113]
	v_mul_f64 v[201:202], v[171:172], s[8:9]
	v_add_f64 v[94:95], v[179:180], v[94:95]
	v_add_f64 v[102:103], v[189:190], v[102:103]
	v_add_f64 v[179:180], v[34:35], -v[38:39]
	v_mul_f64 v[189:190], v[121:122], s[36:37]
	v_add_f64 v[193:194], v[208:209], v[193:194]
	v_mul_f64 v[208:209], v[173:174], s[36:37]
	v_fma_f64 v[218:219], v[151:152], s[4:5], v[114:115]
	v_fma_f64 v[114:115], v[151:152], s[4:5], -v[114:115]
	v_mul_f64 v[222:223], v[173:174], s[42:43]
	v_fma_f64 v[112:113], v[123:124], s[26:27], -v[112:113]
	v_add_f64 v[26:27], v[70:71], v[26:27]
	v_add_f64 v[104:105], v[212:213], v[104:105]
	;; [unrolled: 1-line block ×4, first 2 shown]
	v_fma_f64 v[110:111], v[157:158], s[4:5], v[210:211]
	v_fma_f64 v[210:211], v[151:152], s[18:19], v[197:198]
	v_fma_f64 v[226:227], v[157:158], s[18:19], -v[201:202]
	v_add_f64 v[94:95], v[195:196], v[94:95]
	v_mul_f64 v[195:196], v[121:122], s[42:43]
	v_add_f64 v[102:103], v[199:200], v[102:103]
	v_mul_f64 v[199:200], v[119:120], s[54:55]
	v_mul_f64 v[212:213], v[179:180], s[54:55]
	v_add_f64 v[193:194], v[216:217], v[193:194]
	v_mul_f64 v[216:217], v[139:140], s[20:21]
	v_fma_f64 v[228:229], v[141:142], s[34:35], v[189:190]
	v_fma_f64 v[230:231], v[169:170], s[34:35], -v[208:209]
	v_mul_f64 v[214:215], v[119:120], s[36:37]
	v_fma_f64 v[189:190], v[141:142], s[34:35], -v[189:190]
	v_fma_f64 v[232:233], v[169:170], s[38:39], -v[222:223]
	;; [unrolled: 1-line block ×3, first 2 shown]
	v_mul_f64 v[70:71], v[139:140], s[52:53]
	v_add_f64 v[26:27], v[26:27], v[34:35]
	v_add_f64 v[104:105], v[218:219], v[104:105]
	;; [unrolled: 1-line block ×4, first 2 shown]
	v_fma_f64 v[114:115], v[169:170], s[34:35], v[208:209]
	v_mul_f64 v[208:209], v[135:136], s[44:45]
	v_add_f64 v[94:95], v[110:111], v[94:95]
	v_fma_f64 v[108:109], v[141:142], s[38:39], v[195:196]
	v_add_f64 v[102:103], v[210:211], v[102:103]
	v_mul_f64 v[110:111], v[179:180], s[36:37]
	v_mul_f64 v[210:211], v[137:138], s[44:45]
	v_fma_f64 v[218:219], v[117:118], s[16:17], v[199:200]
	v_fma_f64 v[220:221], v[147:148], s[16:17], -v[212:213]
	v_add_f64 v[193:194], v[226:227], v[193:194]
	v_fma_f64 v[226:227], v[131:132], s[22:23], v[224:225]
	v_fma_f64 v[199:200], v[117:118], s[16:17], -v[199:200]
	v_fma_f64 v[212:213], v[147:148], s[16:17], v[212:213]
	v_fma_f64 v[234:235], v[117:118], s[34:35], v[214:215]
	v_fma_f64 v[224:225], v[131:132], s[22:23], -v[224:225]
	v_fma_f64 v[195:196], v[141:142], s[38:39], -v[195:196]
	;; [unrolled: 1-line block ×3, first 2 shown]
	v_fma_f64 v[34:35], v[133:134], s[38:39], v[70:71]
	v_add_f64 v[104:105], v[228:229], v[104:105]
	v_add_f64 v[106:107], v[230:231], v[106:107]
	v_fma_f64 v[228:229], v[133:134], s[22:23], -v[216:217]
	v_add_f64 v[189:190], v[189:190], v[92:93]
	v_mul_f64 v[230:231], v[165:166], s[40:41]
	v_fma_f64 v[216:217], v[133:134], s[22:23], v[216:217]
	v_add_f64 v[114:115], v[114:115], v[94:95]
	v_fma_f64 v[70:71], v[133:134], s[38:39], -v[70:71]
	v_add_f64 v[108:109], v[108:109], v[102:103]
	v_fma_f64 v[238:239], v[147:148], s[34:35], -v[110:111]
	v_add_f64 v[26:27], v[26:27], v[38:39]
	v_add_f64 v[193:194], v[232:233], v[193:194]
	v_fma_f64 v[232:233], v[145:146], s[34:35], v[208:209]
	v_add_f64 v[226:227], v[66:67], v[226:227]
	v_add_f64 v[34:35], v[64:65], v[34:35]
	;; [unrolled: 1-line block ×4, first 2 shown]
	v_fma_f64 v[104:105], v[167:168], s[34:35], -v[210:211]
	v_add_f64 v[106:107], v[64:65], v[228:229]
	v_add_f64 v[102:103], v[199:200], v[189:190]
	;; [unrolled: 1-line block ×4, first 2 shown]
	v_fma_f64 v[114:115], v[163:164], s[16:17], v[187:188]
	v_add_f64 v[98:99], v[234:235], v[108:109]
	v_fma_f64 v[108:109], v[145:146], s[34:35], -v[208:209]
	v_mul_f64 v[187:188], v[139:140], s[36:37]
	v_mul_f64 v[199:200], v[135:136], s[48:49]
	v_fma_f64 v[208:209], v[131:132], s[34:35], -v[236:237]
	v_add_f64 v[212:213], v[66:67], v[224:225]
	v_add_f64 v[96:97], v[238:239], v[193:194]
	v_mul_f64 v[193:194], v[143:144], s[14:15]
	v_fma_f64 v[218:219], v[155:156], s[26:27], v[183:184]
	v_add_f64 v[220:221], v[232:233], v[226:227]
	v_fma_f64 v[210:211], v[167:168], s[34:35], v[210:211]
	v_add_f64 v[216:217], v[64:65], v[216:217]
	v_mul_f64 v[224:225], v[177:178], s[14:15]
	v_fma_f64 v[226:227], v[163:164], s[26:27], -v[230:231]
	v_fma_f64 v[183:184], v[155:156], s[26:27], -v[183:184]
	v_add_f64 v[70:71], v[64:65], v[70:71]
	v_add_f64 v[26:27], v[26:27], v[30:31]
	;; [unrolled: 1-line block ×4, first 2 shown]
	v_fma_f64 v[112:113], v[149:150], s[26:27], v[204:205]
	v_fma_f64 v[189:190], v[159:160], s[22:23], v[191:192]
	v_add_f64 v[114:115], v[114:115], v[181:182]
	v_fma_f64 v[181:182], v[131:132], s[34:35], v[236:237]
	v_mul_f64 v[191:192], v[161:162], s[42:43]
	v_mul_f64 v[204:205], v[137:138], s[48:49]
	v_fma_f64 v[228:229], v[133:134], s[34:35], -v[187:188]
	v_fma_f64 v[232:233], v[145:146], s[24:25], -v[199:200]
	v_add_f64 v[208:209], v[66:67], v[208:209]
	v_add_f64 v[108:109], v[108:109], v[212:213]
	v_mul_f64 v[212:213], v[127:128], s[54:55]
	v_fma_f64 v[234:235], v[153:154], s[24:25], v[193:194]
	v_add_f64 v[218:219], v[218:219], v[220:221]
	v_fma_f64 v[220:221], v[163:164], s[26:27], v[230:231]
	v_add_f64 v[210:211], v[210:211], v[216:217]
	v_mul_f64 v[216:217], v[175:176], s[54:55]
	v_fma_f64 v[230:231], v[159:160], s[24:25], -v[224:225]
	v_fma_f64 v[193:194], v[153:154], s[24:25], -v[193:194]
	v_fma_f64 v[199:200], v[145:146], s[24:25], v[199:200]
	v_add_f64 v[104:105], v[226:227], v[104:105]
	v_mul_f64 v[226:227], v[143:144], s[50:51]
	v_mul_f64 v[236:237], v[165:166], s[42:43]
	v_fma_f64 v[224:225], v[159:160], s[24:25], v[224:225]
	v_add_f64 v[106:107], v[197:198], v[106:107]
	v_add_f64 v[114:115], v[189:190], v[114:115]
	v_add_f64 v[181:182], v[66:67], v[181:182]
	v_fma_f64 v[240:241], v[155:156], s[38:39], -v[191:192]
	v_fma_f64 v[238:239], v[167:168], s[24:25], -v[204:205]
	v_add_f64 v[228:229], v[64:65], v[228:229]
	v_fma_f64 v[197:198], v[157:158], s[18:19], v[201:202]
	v_add_f64 v[208:209], v[232:233], v[208:209]
	v_add_f64 v[108:109], v[183:184], v[108:109]
	v_mul_f64 v[183:184], v[125:126], s[52:53]
	v_fma_f64 v[189:190], v[123:124], s[16:17], v[212:213]
	v_add_f64 v[218:219], v[234:235], v[218:219]
	v_fma_f64 v[201:202], v[123:124], s[16:17], -v[212:213]
	v_add_f64 v[210:211], v[220:221], v[210:211]
	v_mul_f64 v[220:221], v[171:172], s[52:53]
	v_fma_f64 v[232:233], v[149:150], s[16:17], -v[216:217]
	v_fma_f64 v[191:192], v[155:156], s[38:39], v[191:192]
	v_mul_f64 v[212:213], v[177:178], s[50:51]
	v_add_f64 v[104:105], v[230:231], v[104:105]
	v_fma_f64 v[234:235], v[153:154], s[4:5], -v[226:227]
	v_fma_f64 v[230:231], v[163:164], s[38:39], -v[236:237]
	v_fma_f64 v[216:217], v[149:150], s[16:17], v[216:217]
	v_add_f64 v[106:107], v[195:196], v[106:107]
	v_add_f64 v[112:113], v[112:113], v[114:115]
	;; [unrolled: 1-line block ×3, first 2 shown]
	v_mul_f64 v[199:200], v[127:128], s[8:9]
	v_mul_f64 v[114:115], v[121:122], s[8:9]
	v_add_f64 v[228:229], v[238:239], v[228:229]
	v_fma_f64 v[195:196], v[169:170], s[38:39], v[222:223]
	v_add_f64 v[208:209], v[240:241], v[208:209]
	v_add_f64 v[108:109], v[193:194], v[108:109]
	v_fma_f64 v[193:194], v[151:152], s[38:39], v[183:184]
	v_fma_f64 v[183:184], v[151:152], s[38:39], -v[183:184]
	v_add_f64 v[189:190], v[189:190], v[218:219]
	v_mul_f64 v[218:219], v[173:174], s[8:9]
	v_add_f64 v[210:211], v[224:225], v[210:211]
	v_fma_f64 v[224:225], v[157:158], s[38:39], -v[220:221]
	v_fma_f64 v[222:223], v[153:154], s[4:5], v[226:227]
	v_mul_f64 v[226:227], v[175:176], s[8:9]
	v_fma_f64 v[187:188], v[133:134], s[34:35], v[187:188]
	v_add_f64 v[104:105], v[232:233], v[104:105]
	v_fma_f64 v[232:233], v[159:160], s[4:5], -v[212:213]
	v_fma_f64 v[204:205], v[167:168], s[24:25], v[204:205]
	v_fma_f64 v[236:237], v[163:164], s[38:39], v[236:237]
	v_add_f64 v[22:23], v[26:27], v[22:23]
	v_add_f64 v[112:113], v[197:198], v[112:113]
	;; [unrolled: 1-line block ×3, first 2 shown]
	v_mul_f64 v[191:192], v[125:126], s[54:55]
	v_mul_f64 v[197:198], v[119:120], s[10:11]
	v_add_f64 v[228:229], v[230:231], v[228:229]
	v_fma_f64 v[230:231], v[123:124], s[18:19], -v[199:200]
	v_add_f64 v[208:209], v[234:235], v[208:209]
	v_add_f64 v[108:109], v[201:202], v[108:109]
	v_fma_f64 v[201:202], v[141:142], s[18:19], v[114:115]
	v_mul_f64 v[234:235], v[171:172], s[54:55]
	v_add_f64 v[189:190], v[193:194], v[189:190]
	v_fma_f64 v[193:194], v[157:158], s[38:39], v[220:221]
	v_add_f64 v[210:211], v[216:217], v[210:211]
	v_fma_f64 v[220:221], v[169:170], s[18:19], -v[218:219]
	v_mul_f64 v[216:217], v[179:180], s[10:11]
	v_fma_f64 v[238:239], v[149:150], s[18:19], -v[226:227]
	v_add_f64 v[187:188], v[64:65], v[187:188]
	v_add_f64 v[104:105], v[224:225], v[104:105]
	v_fma_f64 v[224:225], v[147:148], s[34:35], v[110:111]
	v_fma_f64 v[110:111], v[141:142], s[18:19], -v[114:115]
	v_fma_f64 v[114:115], v[123:124], s[18:19], v[199:200]
	v_mul_f64 v[199:200], v[129:130], s[30:31]
	v_add_f64 v[112:113], v[195:196], v[112:113]
	v_add_f64 v[181:182], v[222:223], v[181:182]
	v_mul_f64 v[222:223], v[121:122], s[40:41]
	v_fma_f64 v[195:196], v[169:170], s[18:19], v[218:219]
	v_add_f64 v[228:229], v[232:233], v[228:229]
	v_fma_f64 v[232:233], v[151:152], s[16:17], -v[191:192]
	v_add_f64 v[208:209], v[230:231], v[208:209]
	v_add_f64 v[108:109], v[183:184], v[108:109]
	v_mul_f64 v[218:219], v[139:140], s[30:31]
	v_fma_f64 v[183:184], v[117:118], s[4:5], v[197:198]
	v_add_f64 v[189:190], v[201:202], v[189:190]
	v_fma_f64 v[197:198], v[117:118], s[4:5], -v[197:198]
	v_add_f64 v[193:194], v[193:194], v[210:211]
	v_mul_f64 v[210:211], v[135:136], s[8:9]
	v_fma_f64 v[201:202], v[147:148], s[4:5], -v[216:217]
	v_fma_f64 v[191:192], v[151:152], s[16:17], v[191:192]
	v_mul_f64 v[230:231], v[173:174], s[40:41]
	v_add_f64 v[104:105], v[220:221], v[104:105]
	v_fma_f64 v[240:241], v[157:158], s[16:17], -v[234:235]
	v_add_f64 v[187:188], v[204:205], v[187:188]
	s_mov_b32 s55, 0x3fc7851a
	v_fma_f64 v[220:221], v[131:132], s[16:17], v[199:200]
	v_fma_f64 v[199:200], v[131:132], s[16:17], -v[199:200]
	v_add_f64 v[114:115], v[114:115], v[181:182]
	v_mul_f64 v[181:182], v[119:120], s[20:21]
	s_mov_b32 s54, s8
	v_add_f64 v[228:229], v[238:239], v[228:229]
	v_fma_f64 v[238:239], v[141:142], s[26:27], -v[222:223]
	v_add_f64 v[208:209], v[232:233], v[208:209]
	v_add_f64 v[232:233], v[110:111], v[108:109]
	;; [unrolled: 1-line block ×3, first 2 shown]
	v_fma_f64 v[214:215], v[147:148], s[4:5], v[216:217]
	v_mul_f64 v[216:217], v[137:138], s[8:9]
	v_fma_f64 v[242:243], v[133:134], s[16:17], -v[218:219]
	v_add_f64 v[193:194], v[195:196], v[193:194]
	v_fma_f64 v[195:196], v[145:146], s[18:19], v[210:211]
	v_add_f64 v[108:109], v[224:225], v[112:113]
	v_add_f64 v[106:107], v[183:184], v[189:190]
	v_mul_f64 v[189:190], v[161:162], s[44:45]
	v_fma_f64 v[183:184], v[141:142], s[26:27], v[222:223]
	v_fma_f64 v[210:211], v[145:146], s[18:19], -v[210:211]
	v_add_f64 v[187:188], v[236:237], v[187:188]
	v_mul_f64 v[236:237], v[139:140], s[50:51]
	v_add_f64 v[204:205], v[66:67], v[220:221]
	v_fma_f64 v[220:221], v[169:170], s[26:27], -v[230:231]
	v_add_f64 v[191:192], v[191:192], v[114:115]
	v_fma_f64 v[224:225], v[117:118], s[22:23], -v[181:182]
	v_add_f64 v[199:200], v[66:67], v[199:200]
	v_add_f64 v[222:223], v[240:241], v[228:229]
	v_fma_f64 v[218:219], v[133:134], s[16:17], v[218:219]
	v_add_f64 v[208:209], v[238:239], v[208:209]
	v_add_f64 v[114:115], v[197:198], v[232:233]
	v_fma_f64 v[197:198], v[159:160], s[4:5], v[212:213]
	v_mul_f64 v[212:213], v[165:166], s[44:45]
	v_fma_f64 v[228:229], v[167:168], s[18:19], -v[216:217]
	v_mul_f64 v[232:233], v[129:130], s[50:51]
	v_add_f64 v[238:239], v[64:65], v[242:243]
	v_add_f64 v[112:113], v[214:215], v[193:194]
	v_mul_f64 v[193:194], v[143:144], s[28:29]
	v_mul_f64 v[242:243], v[137:138], s[20:21]
	v_fma_f64 v[214:215], v[155:156], s[34:35], v[189:190]
	v_fma_f64 v[189:190], v[155:156], s[34:35], -v[189:190]
	v_fma_f64 v[90:91], v[167:168], s[18:19], v[216:217]
	v_add_f64 v[104:105], v[201:202], v[104:105]
	v_fma_f64 v[244:245], v[133:134], s[4:5], -v[236:237]
	v_add_f64 v[195:196], v[195:196], v[204:205]
	v_add_f64 v[204:205], v[88:89], v[64:65]
	;; [unrolled: 1-line block ×3, first 2 shown]
	v_mul_f64 v[191:192], v[177:178], s[28:29]
	v_add_f64 v[199:200], v[210:211], v[199:200]
	v_add_f64 v[220:221], v[220:221], v[222:223]
	v_mul_f64 v[210:211], v[175:176], s[50:51]
	v_add_f64 v[88:89], v[224:225], v[208:209]
	v_fma_f64 v[208:209], v[149:150], s[18:19], v[226:227]
	v_mul_f64 v[224:225], v[135:136], s[20:21]
	v_fma_f64 v[222:223], v[163:164], s[34:35], -v[212:213]
	v_add_f64 v[187:188], v[197:198], v[187:188]
	v_fma_f64 v[226:227], v[131:132], s[4:5], v[232:233]
	v_add_f64 v[228:229], v[228:229], v[238:239]
	v_fma_f64 v[197:198], v[157:158], s[16:17], v[234:235]
	v_mul_f64 v[234:235], v[127:128], s[50:51]
	v_fma_f64 v[238:239], v[153:154], s[26:27], v[193:194]
	v_add_f64 v[216:217], v[64:65], v[218:219]
	v_mul_f64 v[218:219], v[161:162], s[54:55]
	v_fma_f64 v[246:247], v[167:168], s[22:23], -v[242:243]
	v_fma_f64 v[193:194], v[153:154], s[26:27], -v[193:194]
	v_add_f64 v[244:245], v[64:65], v[244:245]
	v_add_f64 v[195:196], v[214:215], v[195:196]
	;; [unrolled: 1-line block ×3, first 2 shown]
	v_fma_f64 v[204:205], v[131:132], s[4:5], -v[232:233]
	v_fma_f64 v[214:215], v[159:160], s[26:27], -v[191:192]
	v_add_f64 v[189:190], v[189:190], v[199:200]
	v_fma_f64 v[212:213], v[163:164], s[34:35], v[212:213]
	v_fma_f64 v[191:192], v[159:160], s[26:27], v[191:192]
	v_mul_f64 v[201:202], v[179:180], s[20:21]
	v_add_f64 v[18:19], v[22:23], v[18:19]
	v_fma_f64 v[232:233], v[145:146], s[22:23], v[224:225]
	v_fma_f64 v[86:87], v[145:146], s[22:23], -v[224:225]
	v_add_f64 v[187:188], v[208:209], v[187:188]
	v_add_f64 v[226:227], v[66:67], v[226:227]
	;; [unrolled: 1-line block ×3, first 2 shown]
	v_fma_f64 v[208:209], v[169:170], s[26:27], v[230:231]
	v_mul_f64 v[230:231], v[165:166], s[54:55]
	v_fma_f64 v[199:200], v[123:124], s[4:5], v[234:235]
	v_add_f64 v[90:91], v[90:91], v[216:217]
	v_mul_f64 v[216:217], v[143:144], s[44:45]
	v_fma_f64 v[224:225], v[155:156], s[18:19], v[218:219]
	v_mul_f64 v[228:229], v[125:126], s[14:15]
	v_add_f64 v[244:245], v[246:247], v[244:245]
	v_add_f64 v[195:196], v[238:239], v[195:196]
	;; [unrolled: 1-line block ×3, first 2 shown]
	v_mul_f64 v[238:239], v[171:172], s[14:15]
	v_fma_f64 v[84:85], v[149:150], s[4:5], -v[210:211]
	v_add_f64 v[204:205], v[66:67], v[204:205]
	v_add_f64 v[189:190], v[193:194], v[189:190]
	v_fma_f64 v[82:83], v[155:156], s[18:19], -v[218:219]
	v_fma_f64 v[240:241], v[147:148], s[22:23], -v[201:202]
	v_add_f64 v[14:15], v[18:19], v[14:15]
	v_fma_f64 v[181:182], v[117:118], s[22:23], v[181:182]
	v_add_f64 v[187:188], v[197:198], v[187:188]
	v_add_f64 v[226:227], v[232:233], v[226:227]
	;; [unrolled: 1-line block ×3, first 2 shown]
	v_fma_f64 v[222:223], v[133:134], s[4:5], v[236:237]
	v_fma_f64 v[232:233], v[123:124], s[4:5], -v[234:235]
	v_mul_f64 v[234:235], v[177:178], s[44:45]
	v_fma_f64 v[236:237], v[163:164], s[18:19], -v[230:231]
	v_add_f64 v[90:91], v[212:213], v[90:91]
	v_fma_f64 v[212:213], v[153:154], s[34:35], v[216:217]
	v_fma_f64 v[193:194], v[151:152], s[24:25], v[228:229]
	v_mul_f64 v[197:198], v[121:122], s[46:47]
	v_add_f64 v[195:196], v[199:200], v[195:196]
	v_add_f64 v[76:77], v[76:77], v[80:81]
	v_mul_f64 v[199:200], v[173:174], s[46:47]
	v_fma_f64 v[80:81], v[157:158], s[24:25], -v[238:239]
	v_add_f64 v[86:87], v[86:87], v[204:205]
	v_mul_f64 v[204:205], v[127:128], s[42:43]
	v_fma_f64 v[78:79], v[153:154], s[34:35], -v[216:217]
	v_add_f64 v[10:11], v[14:15], v[10:11]
	v_add_f64 v[187:188], v[208:209], v[187:188]
	;; [unrolled: 1-line block ×4, first 2 shown]
	v_fma_f64 v[224:225], v[167:168], s[22:23], v[242:243]
	v_add_f64 v[222:223], v[64:65], v[222:223]
	v_fma_f64 v[226:227], v[151:152], s[24:25], -v[228:229]
	v_mul_f64 v[228:229], v[175:176], s[42:43]
	v_fma_f64 v[242:243], v[159:160], s[34:35], -v[234:235]
	v_add_f64 v[236:237], v[236:237], v[244:245]
	v_add_f64 v[189:190], v[232:233], v[189:190]
	;; [unrolled: 1-line block ×3, first 2 shown]
	v_mul_f64 v[191:192], v[125:126], s[40:41]
	v_add_f64 v[72:73], v[72:73], v[76:77]
	v_fma_f64 v[76:77], v[169:170], s[22:23], -v[199:200]
	v_fma_f64 v[232:233], v[141:142], s[22:23], v[197:198]
	v_add_f64 v[82:83], v[82:83], v[86:87]
	v_fma_f64 v[86:87], v[149:150], s[4:5], v[210:211]
	v_fma_f64 v[210:211], v[123:124], s[38:39], v[204:205]
	v_fma_f64 v[197:198], v[141:142], s[22:23], -v[197:198]
	v_fma_f64 v[74:75], v[123:124], s[38:39], -v[204:205]
	v_add_f64 v[193:194], v[193:194], v[195:196]
	v_mul_f64 v[214:215], v[119:120], s[42:43]
	v_mul_f64 v[195:196], v[179:180], s[42:43]
	v_add_f64 v[212:213], v[212:213], v[218:219]
	v_add_f64 v[80:81], v[80:81], v[84:85]
	v_fma_f64 v[84:85], v[147:148], s[22:23], v[201:202]
	v_fma_f64 v[201:202], v[163:164], s[18:19], v[230:231]
	v_add_f64 v[216:217], v[224:225], v[222:223]
	v_mul_f64 v[218:219], v[171:172], s[40:41]
	v_fma_f64 v[222:223], v[149:150], s[38:39], -v[228:229]
	v_add_f64 v[224:225], v[242:243], v[236:237]
	v_add_f64 v[189:190], v[226:227], v[189:190]
	;; [unrolled: 1-line block ×3, first 2 shown]
	v_fma_f64 v[204:205], v[151:152], s[26:27], v[191:192]
	v_add_f64 v[68:69], v[68:69], v[72:73]
	v_fma_f64 v[191:192], v[151:152], s[26:27], -v[191:192]
	v_add_f64 v[78:79], v[78:79], v[82:83]
	v_fma_f64 v[82:83], v[157:158], s[24:25], v[238:239]
	v_add_f64 v[86:87], v[86:87], v[90:91]
	v_mul_f64 v[90:91], v[121:122], s[30:31]
	v_add_f64 v[193:194], v[232:233], v[193:194]
	v_mul_f64 v[232:233], v[165:166], s[20:21]
	v_fma_f64 v[208:209], v[117:118], s[38:39], v[214:215]
	v_add_f64 v[210:211], v[210:211], v[212:213]
	v_add_f64 v[76:77], v[76:77], v[80:81]
	v_mul_f64 v[80:81], v[129:130], s[52:53]
	v_fma_f64 v[212:213], v[159:160], s[34:35], v[234:235]
	v_add_f64 v[201:202], v[201:202], v[216:217]
	v_fma_f64 v[226:227], v[157:158], s[26:27], -v[218:219]
	v_mul_f64 v[129:130], v[129:130], s[40:41]
	v_add_f64 v[222:223], v[222:223], v[224:225]
	v_mul_f64 v[216:217], v[173:174], s[30:31]
	v_add_f64 v[189:190], v[197:198], v[189:190]
	v_mul_f64 v[224:225], v[179:180], s[14:15]
	v_add_f64 v[24:25], v[24:25], v[68:69]
	v_mul_f64 v[68:69], v[139:140], s[40:41]
	v_fma_f64 v[72:73], v[147:148], s[38:39], -v[195:196]
	v_add_f64 v[74:75], v[74:75], v[78:79]
	v_fma_f64 v[78:79], v[169:170], s[22:23], v[199:200]
	v_mul_f64 v[199:200], v[135:136], s[30:31]
	v_mul_f64 v[135:136], v[135:136], s[52:53]
	v_add_f64 v[82:83], v[82:83], v[86:87]
	v_mul_f64 v[86:87], v[119:120], s[14:15]
	v_fma_f64 v[139:140], v[141:142], s[16:17], v[90:91]
	v_fma_f64 v[90:91], v[141:142], s[16:17], -v[90:91]
	v_add_f64 v[197:198], v[204:205], v[210:211]
	v_fma_f64 v[210:211], v[149:150], s[38:39], v[228:229]
	v_fma_f64 v[204:205], v[131:132], s[38:39], -v[80:81]
	v_fma_f64 v[80:81], v[131:132], s[38:39], v[80:81]
	v_add_f64 v[201:202], v[212:213], v[201:202]
	v_mul_f64 v[212:213], v[137:138], s[30:31]
	v_mul_f64 v[137:138], v[137:138], s[52:53]
	v_add_f64 v[222:223], v[226:227], v[222:223]
	v_fma_f64 v[226:227], v[131:132], s[26:27], -v[129:130]
	v_fma_f64 v[228:229], v[169:170], s[16:17], -v[216:217]
	v_fma_f64 v[129:130], v[131:132], s[26:27], v[129:130]
	v_add_f64 v[24:25], v[24:25], v[32:33]
	v_fma_f64 v[32:33], v[133:134], s[26:27], v[68:69]
	v_fma_f64 v[68:69], v[133:134], s[26:27], -v[68:69]
	v_add_f64 v[74:75], v[191:192], v[74:75]
	v_fma_f64 v[191:192], v[169:170], s[16:17], v[216:217]
	v_fma_f64 v[216:217], v[157:158], s[26:27], v[218:219]
	v_mul_f64 v[218:219], v[161:162], s[20:21]
	v_fma_f64 v[230:231], v[145:146], s[16:17], -v[199:200]
	v_mul_f64 v[131:132], v[161:162], s[50:51]
	v_mul_f64 v[133:134], v[165:166], s[50:51]
	v_fma_f64 v[161:162], v[145:146], s[38:39], -v[135:136]
	v_fma_f64 v[38:39], v[145:146], s[16:17], v[199:200]
	v_fma_f64 v[135:136], v[145:146], s[38:39], v[135:136]
	v_add_f64 v[204:205], v[66:67], v[204:205]
	v_add_f64 v[80:81], v[66:67], v[80:81]
	;; [unrolled: 1-line block ×3, first 2 shown]
	v_fma_f64 v[210:211], v[167:168], s[16:17], v[212:213]
	v_fma_f64 v[212:213], v[167:168], s[16:17], -v[212:213]
	v_mul_f64 v[199:200], v[177:178], s[8:9]
	v_add_f64 v[165:166], v[66:67], v[226:227]
	v_fma_f64 v[226:227], v[167:168], s[38:39], v[137:138]
	v_add_f64 v[66:67], v[66:67], v[129:130]
	v_add_f64 v[24:25], v[24:25], v[36:37]
	;; [unrolled: 1-line block ×3, first 2 shown]
	v_mul_f64 v[36:37], v[143:144], s[8:9]
	v_fma_f64 v[129:130], v[167:168], s[38:39], -v[137:138]
	v_add_f64 v[64:65], v[64:65], v[68:69]
	v_mul_f64 v[143:144], v[143:144], s[30:31]
	v_fma_f64 v[234:235], v[155:156], s[22:23], -v[218:219]
	v_mul_f64 v[68:69], v[177:178], s[30:31]
	v_fma_f64 v[137:138], v[155:156], s[4:5], -v[131:132]
	v_fma_f64 v[131:132], v[155:156], s[4:5], v[131:132]
	v_add_f64 v[74:75], v[90:91], v[74:75]
	v_fma_f64 v[90:91], v[147:148], s[24:25], v[224:225]
	v_fma_f64 v[214:215], v[117:118], s[38:39], -v[214:215]
	v_add_f64 v[204:205], v[230:231], v[204:205]
	v_fma_f64 v[230:231], v[163:164], s[22:23], v[232:233]
	v_add_f64 v[38:39], v[38:39], v[80:81]
	v_add_f64 v[30:31], v[210:211], v[34:35]
	v_fma_f64 v[34:35], v[155:156], s[22:23], v[218:219]
	v_add_f64 v[70:71], v[212:213], v[70:71]
	v_add_f64 v[145:146], v[161:162], v[165:166]
	v_fma_f64 v[161:162], v[163:164], s[4:5], v[133:134]
	v_fma_f64 v[165:166], v[163:164], s[22:23], -v[232:233]
	v_add_f64 v[24:25], v[24:25], v[28:29]
	v_add_f64 v[28:29], v[226:227], v[32:33]
	v_mul_f64 v[32:33], v[127:128], s[48:49]
	v_fma_f64 v[167:168], v[153:154], s[18:19], -v[36:37]
	v_add_f64 v[66:67], v[135:136], v[66:67]
	v_fma_f64 v[133:134], v[163:164], s[4:5], -v[133:134]
	v_add_f64 v[64:65], v[129:130], v[64:65]
	v_mul_f64 v[127:128], v[127:128], s[36:37]
	v_mul_f64 v[129:130], v[175:176], s[36:37]
	v_fma_f64 v[135:136], v[153:154], s[16:17], -v[143:144]
	v_mul_f64 v[80:81], v[175:176], s[48:49]
	v_fma_f64 v[143:144], v[153:154], s[16:17], v[143:144]
	v_fma_f64 v[195:196], v[147:148], s[38:39], v[195:196]
	v_add_f64 v[177:178], v[234:235], v[204:205]
	v_fma_f64 v[204:205], v[159:160], s[18:19], v[199:200]
	v_add_f64 v[78:79], v[78:79], v[82:83]
	v_add_f64 v[26:27], v[230:231], v[30:31]
	v_fma_f64 v[30:31], v[153:154], s[18:19], v[36:37]
	v_add_f64 v[34:35], v[34:35], v[38:39]
	v_add_f64 v[137:138], v[137:138], v[145:146]
	v_fma_f64 v[145:146], v[159:160], s[16:17], v[68:69]
	v_fma_f64 v[38:39], v[159:160], s[18:19], -v[199:200]
	v_add_f64 v[20:21], v[24:25], v[20:21]
	v_add_f64 v[24:25], v[161:162], v[28:29]
	;; [unrolled: 1-line block ×3, first 2 shown]
	v_mul_f64 v[28:29], v[125:126], s[44:45]
	v_fma_f64 v[155:156], v[123:124], s[24:25], -v[32:33]
	v_add_f64 v[66:67], v[131:132], v[66:67]
	v_fma_f64 v[68:69], v[159:160], s[16:17], -v[68:69]
	v_add_f64 v[64:65], v[133:134], v[64:65]
	v_mul_f64 v[125:126], v[125:126], s[20:21]
	v_mul_f64 v[131:132], v[171:172], s[20:21]
	v_fma_f64 v[133:134], v[123:124], s[34:35], -v[127:128]
	v_mul_f64 v[36:37], v[171:172], s[44:45]
	v_fma_f64 v[163:164], v[149:150], s[24:25], v[80:81]
	v_add_f64 v[161:162], v[167:168], v[177:178]
	v_fma_f64 v[82:83], v[117:118], s[24:25], v[86:87]
	v_add_f64 v[4:5], v[214:215], v[189:190]
	v_add_f64 v[22:23], v[204:205], v[26:27]
	v_fma_f64 v[26:27], v[123:124], s[24:25], v[32:33]
	v_add_f64 v[30:31], v[30:31], v[34:35]
	v_add_f64 v[135:136], v[135:136], v[137:138]
	v_fma_f64 v[137:138], v[149:150], s[34:35], v[129:130]
	v_fma_f64 v[34:35], v[149:150], s[24:25], -v[80:81]
	v_add_f64 v[16:17], v[20:21], v[16:17]
	v_add_f64 v[20:21], v[145:146], v[24:25]
	;; [unrolled: 1-line block ×3, first 2 shown]
	v_mul_f64 v[24:25], v[121:122], s[10:11]
	v_fma_f64 v[70:71], v[151:152], s[34:35], -v[28:29]
	v_fma_f64 v[123:124], v[123:124], s[34:35], v[127:128]
	v_add_f64 v[66:67], v[143:144], v[66:67]
	v_fma_f64 v[127:128], v[149:150], s[34:35], -v[129:130]
	v_add_f64 v[64:65], v[68:69], v[64:65]
	v_mul_f64 v[121:122], v[121:122], s[14:15]
	v_mul_f64 v[68:69], v[173:174], s[14:15]
	v_fma_f64 v[129:130], v[151:152], s[22:23], -v[125:126]
	v_mul_f64 v[32:33], v[173:174], s[10:11]
	v_add_f64 v[80:81], v[155:156], v[161:162]
	v_fma_f64 v[145:146], v[157:158], s[34:35], v[36:37]
	v_add_f64 v[2:3], v[195:196], v[78:79]
	v_add_f64 v[18:19], v[163:164], v[22:23]
	v_fma_f64 v[22:23], v[151:152], s[34:35], v[28:29]
	v_add_f64 v[26:27], v[26:27], v[30:31]
	v_add_f64 v[133:134], v[133:134], v[135:136]
	v_fma_f64 v[135:136], v[157:158], s[22:23], v[131:132]
	v_fma_f64 v[30:31], v[157:158], s[34:35], -v[36:37]
	v_add_f64 v[12:13], v[16:17], v[12:13]
	v_add_f64 v[16:17], v[137:138], v[20:21]
	;; [unrolled: 1-line block ×3, first 2 shown]
	v_mul_f64 v[20:21], v[119:120], s[28:29]
	v_fma_f64 v[36:37], v[141:142], s[4:5], -v[24:25]
	v_mul_f64 v[28:29], v[179:180], s[28:29]
	v_add_f64 v[66:67], v[123:124], v[66:67]
	v_fma_f64 v[123:124], v[157:158], s[22:23], -v[131:132]
	v_add_f64 v[64:65], v[127:128], v[64:65]
	v_fma_f64 v[127:128], v[141:142], s[24:25], -v[121:122]
	v_fma_f64 v[131:132], v[169:170], s[24:25], v[68:69]
	v_fma_f64 v[24:25], v[141:142], s[4:5], v[24:25]
	v_add_f64 v[38:39], v[70:71], v[80:81]
	v_mul_f64 v[80:81], v[119:120], s[8:9]
	v_fma_f64 v[119:120], v[151:152], s[22:23], v[125:126]
	v_mul_f64 v[125:126], v[179:180], s[8:9]
	v_fma_f64 v[70:71], v[169:170], s[4:5], v[32:33]
	v_add_f64 v[14:15], v[145:146], v[18:19]
	v_add_f64 v[129:130], v[129:130], v[133:134]
	;; [unrolled: 1-line block ×3, first 2 shown]
	v_fma_f64 v[26:27], v[169:170], s[4:5], -v[32:33]
	v_add_f64 v[8:9], v[12:13], v[8:9]
	v_add_f64 v[12:13], v[135:136], v[16:17]
	;; [unrolled: 1-line block ×4, first 2 shown]
	v_fma_f64 v[18:19], v[117:118], s[24:25], -v[86:87]
	v_fma_f64 v[32:33], v[117:118], s[26:27], -v[20:21]
	;; [unrolled: 1-line block ×3, first 2 shown]
	v_add_f64 v[135:136], v[228:229], v[222:223]
	v_add_f64 v[64:65], v[123:124], v[64:65]
	v_fma_f64 v[137:138], v[117:118], s[26:27], v[20:21]
	v_add_f64 v[20:21], v[6:7], v[250:251]
	v_add_f64 v[86:87], v[84:85], v[187:188]
	;; [unrolled: 1-line block ×3, first 2 shown]
	v_fma_f64 v[36:37], v[141:142], s[24:25], v[121:122]
	v_add_f64 v[38:39], v[119:120], v[66:67]
	v_fma_f64 v[66:67], v[169:170], s[24:25], -v[68:69]
	v_fma_f64 v[119:120], v[117:118], s[18:19], -v[80:81]
	v_fma_f64 v[123:124], v[147:148], s[18:19], v[125:126]
	v_add_f64 v[121:122], v[127:128], v[129:130]
	v_fma_f64 v[68:69], v[147:148], s[26:27], v[28:29]
	v_add_f64 v[70:71], v[70:71], v[14:15]
	v_add_f64 v[10:11], v[8:9], v[0:1]
	;; [unrolled: 1-line block ×6, first 2 shown]
	v_fma_f64 v[141:142], v[147:148], s[26:27], -v[28:29]
	v_add_f64 v[143:144], v[26:27], v[30:31]
	v_fma_f64 v[80:81], v[117:118], s[18:19], v[80:81]
	v_fma_f64 v[117:118], v[147:148], s[18:19], -v[125:126]
	v_add_f64 v[8:9], v[18:19], v[74:75]
	v_add_f64 v[24:25], v[181:182], v[183:184]
	;; [unrolled: 1-line block ×3, first 2 shown]
	v_and_b32_e32 v0, 0xffff, v203
	v_add_f64 v[12:13], v[32:33], v[34:35]
	v_add_f64 v[28:29], v[208:209], v[193:194]
	;; [unrolled: 1-line block ×7, first 2 shown]
	v_lshl_add_u32 v0, v0, 4, v206
	v_add_f64 v[18:19], v[10:11], v[248:249]
	v_add_f64 v[14:15], v[123:124], v[127:128]
	;; [unrolled: 1-line block ×9, first 2 shown]
	ds_write_b128 v0, v[18:21]
	ds_write_b128 v0, v[14:17] offset:16
	ds_write_b128 v0, v[10:13] offset:32
	;; [unrolled: 1-line block ×16, first 2 shown]
.LBB0_13:
	s_or_b32 exec_lo, exec_lo, s33
	s_waitcnt lgkmcnt(0)
	s_barrier
	buffer_gl0_inv
	ds_read_b128 v[0:3], v186 offset:272
	ds_read_b128 v[4:7], v186 offset:544
	;; [unrolled: 1-line block ×6, first 2 shown]
	s_mov_b32 s4, 0x37e14327
	s_mov_b32 s5, 0x3fe948f6
	;; [unrolled: 1-line block ×10, first 2 shown]
	s_waitcnt lgkmcnt(5)
	v_mul_f64 v[24:25], v[46:47], v[2:3]
	v_mul_f64 v[26:27], v[46:47], v[0:1]
	s_waitcnt lgkmcnt(4)
	v_mul_f64 v[28:29], v[42:43], v[6:7]
	v_mul_f64 v[30:31], v[42:43], v[4:5]
	s_waitcnt lgkmcnt(3)
	v_mul_f64 v[32:33], v[50:51], v[10:11]
	v_mul_f64 v[34:35], v[50:51], v[8:9]
	s_waitcnt lgkmcnt(2)
	v_mul_f64 v[36:37], v[62:63], v[14:15]
	v_mul_f64 v[38:39], v[62:63], v[12:13]
	s_waitcnt lgkmcnt(1)
	v_mul_f64 v[42:43], v[58:59], v[18:19]
	v_mul_f64 v[46:47], v[58:59], v[16:17]
	s_waitcnt lgkmcnt(0)
	v_mul_f64 v[50:51], v[54:55], v[22:23]
	v_mul_f64 v[54:55], v[54:55], v[20:21]
	v_fma_f64 v[0:1], v[44:45], v[0:1], v[24:25]
	v_fma_f64 v[2:3], v[44:45], v[2:3], -v[26:27]
	v_fma_f64 v[4:5], v[40:41], v[4:5], v[28:29]
	v_fma_f64 v[6:7], v[40:41], v[6:7], -v[30:31]
	;; [unrolled: 2-line block ×6, first 2 shown]
	v_add_f64 v[24:25], v[0:1], v[8:9]
	v_add_f64 v[26:27], v[2:3], v[10:11]
	v_add_f64 v[28:29], v[4:5], v[12:13]
	v_add_f64 v[30:31], v[6:7], v[14:15]
	v_add_f64 v[4:5], v[4:5], -v[12:13]
	v_add_f64 v[6:7], v[6:7], -v[14:15]
	v_add_f64 v[32:33], v[16:17], v[20:21]
	v_add_f64 v[34:35], v[18:19], v[22:23]
	v_add_f64 v[12:13], v[20:21], -v[16:17]
	v_add_f64 v[14:15], v[22:23], -v[18:19]
	v_add_f64 v[8:9], v[0:1], -v[8:9]
	v_add_f64 v[10:11], v[2:3], -v[10:11]
	ds_read_b128 v[0:3], v186
	v_add_f64 v[16:17], v[28:29], v[24:25]
	v_add_f64 v[18:19], v[30:31], v[26:27]
	v_add_f64 v[20:21], v[24:25], -v[32:33]
	v_add_f64 v[22:23], v[26:27], -v[34:35]
	;; [unrolled: 1-line block ×10, first 2 shown]
	v_add_f64 v[4:5], v[12:13], v[4:5]
	v_add_f64 v[6:7], v[14:15], v[6:7]
	v_add_f64 v[12:13], v[8:9], -v[12:13]
	v_add_f64 v[14:15], v[10:11], -v[14:15]
	v_add_f64 v[16:17], v[32:33], v[16:17]
	v_add_f64 v[18:19], v[34:35], v[18:19]
	v_mul_f64 v[20:21], v[20:21], s[4:5]
	v_mul_f64 v[22:23], v[22:23], s[4:5]
	s_mov_b32 s4, 0x429ad128
	v_mul_f64 v[28:29], v[36:37], s[8:9]
	v_mul_f64 v[30:31], v[38:39], s[8:9]
	;; [unrolled: 1-line block ×4, first 2 shown]
	s_mov_b32 s5, 0xbfebfeb5
	s_mov_b32 s10, 0xaaaaaaaa
	v_mul_f64 v[40:41], v[44:45], s[4:5]
	v_mul_f64 v[42:43], v[46:47], s[4:5]
	s_mov_b32 s11, 0xbff2aaaa
	v_add_f64 v[4:5], v[4:5], v[8:9]
	v_add_f64 v[6:7], v[6:7], v[10:11]
	s_waitcnt lgkmcnt(0)
	v_add_f64 v[0:1], v[0:1], v[16:17]
	v_add_f64 v[2:3], v[2:3], v[18:19]
	v_fma_f64 v[8:9], v[36:37], s[8:9], v[20:21]
	v_fma_f64 v[10:11], v[38:39], s[8:9], v[22:23]
	v_fma_f64 v[28:29], v[24:25], s[14:15], -v[28:29]
	v_fma_f64 v[30:31], v[26:27], s[14:15], -v[30:31]
	s_mov_b32 s15, 0xbfe77f67
	v_fma_f64 v[36:37], v[12:13], s[16:17], v[32:33]
	v_fma_f64 v[38:39], v[14:15], s[16:17], v[34:35]
	s_mov_b32 s17, 0x3fd5d0dc
	v_fma_f64 v[20:21], v[24:25], s[14:15], -v[20:21]
	v_fma_f64 v[12:13], v[12:13], s[16:17], -v[40:41]
	;; [unrolled: 1-line block ×6, first 2 shown]
	s_mov_b32 s4, 0x37c3f68c
	s_mov_b32 s5, 0xbfdc38aa
	v_fma_f64 v[16:17], v[16:17], s[10:11], v[0:1]
	v_fma_f64 v[18:19], v[18:19], s[10:11], v[2:3]
	;; [unrolled: 1-line block ×8, first 2 shown]
	v_add_f64 v[40:41], v[8:9], v[16:17]
	v_add_f64 v[42:43], v[10:11], v[18:19]
	;; [unrolled: 1-line block ×7, first 2 shown]
	v_add_f64 v[6:7], v[42:43], -v[26:27]
	v_add_f64 v[8:9], v[38:39], v[20:21]
	v_add_f64 v[10:11], v[22:23], -v[36:37]
	v_add_f64 v[12:13], v[16:17], -v[34:35]
	v_add_f64 v[14:15], v[32:33], v[18:19]
	v_add_f64 v[16:17], v[34:35], v[16:17]
	v_add_f64 v[18:19], v[18:19], -v[32:33]
	v_add_f64 v[20:21], v[20:21], -v[38:39]
	v_add_f64 v[22:23], v[36:37], v[22:23]
	v_add_f64 v[24:25], v[40:41], -v[24:25]
	v_add_f64 v[26:27], v[26:27], v[42:43]
	ds_write_b128 v185, v[0:3]
	ds_write_b128 v185, v[4:7] offset:272
	ds_write_b128 v185, v[8:11] offset:544
	;; [unrolled: 1-line block ×6, first 2 shown]
	s_waitcnt lgkmcnt(0)
	s_barrier
	buffer_gl0_inv
	s_and_b32 exec_lo, exec_lo, vcc_lo
	s_cbranch_execz .LBB0_15
; %bb.14:
	global_load_dwordx4 v[0:3], v255, s[6:7]
	ds_read_b128 v[4:7], v185
	ds_read_b128 v[8:11], v185 offset:112
	v_mad_u64_u32 v[14:15], null, s2, v116, 0
	s_mul_i32 s4, s1, 0x70
	s_mul_hi_u32 s8, s0, 0x70
	s_mul_i32 s5, s0, 0x70
	s_add_i32 s4, s8, s4
	s_waitcnt vmcnt(0) lgkmcnt(1)
	v_mul_f64 v[12:13], v[6:7], v[2:3]
	v_mul_f64 v[2:3], v[4:5], v[2:3]
	v_fma_f64 v[4:5], v[4:5], v[0:1], v[12:13]
	v_fma_f64 v[0:1], v[0:1], v[6:7], -v[2:3]
	v_mad_u64_u32 v[6:7], null, s0, v207, 0
	v_mov_b32_e32 v2, v15
	v_mov_b32_e32 v3, v7
	v_mad_u64_u32 v[12:13], null, s3, v116, v[2:3]
	s_mov_b32 s2, 0x1135c811
	s_mov_b32 s3, 0x3f8135c8
	v_mad_u64_u32 v[16:17], null, s1, v207, v[3:4]
	v_mov_b32_e32 v15, v12
	v_mul_f64 v[2:3], v[4:5], s[2:3]
	v_mul_f64 v[4:5], v[0:1], s[2:3]
	v_lshlrev_b64 v[0:1], 4, v[14:15]
	v_mov_b32_e32 v7, v16
	v_add_co_u32 v0, vcc_lo, s12, v0
	v_lshlrev_b64 v[6:7], 4, v[6:7]
	v_add_co_ci_u32_e32 v1, vcc_lo, s13, v1, vcc_lo
	v_add_co_u32 v6, vcc_lo, v0, v6
	v_add_co_ci_u32_e32 v7, vcc_lo, v1, v7, vcc_lo
	v_add_co_u32 v14, vcc_lo, v6, s5
	global_store_dwordx4 v[6:7], v[2:5], off
	global_load_dwordx4 v[2:5], v255, s[6:7] offset:112
	v_add_co_ci_u32_e32 v15, vcc_lo, s4, v7, vcc_lo
	s_waitcnt vmcnt(0) lgkmcnt(0)
	v_mul_f64 v[12:13], v[10:11], v[4:5]
	v_mul_f64 v[4:5], v[8:9], v[4:5]
	v_fma_f64 v[8:9], v[8:9], v[2:3], v[12:13]
	v_fma_f64 v[4:5], v[2:3], v[10:11], -v[4:5]
	v_mul_f64 v[2:3], v[8:9], s[2:3]
	v_mul_f64 v[4:5], v[4:5], s[2:3]
	global_store_dwordx4 v[14:15], v[2:5], off
	global_load_dwordx4 v[2:5], v255, s[6:7] offset:224
	ds_read_b128 v[6:9], v185 offset:224
	ds_read_b128 v[10:13], v185 offset:336
	s_waitcnt vmcnt(0) lgkmcnt(1)
	v_mul_f64 v[16:17], v[8:9], v[4:5]
	v_mul_f64 v[4:5], v[6:7], v[4:5]
	v_fma_f64 v[6:7], v[6:7], v[2:3], v[16:17]
	v_fma_f64 v[4:5], v[2:3], v[8:9], -v[4:5]
	v_mul_f64 v[2:3], v[6:7], s[2:3]
	v_mul_f64 v[4:5], v[4:5], s[2:3]
	v_add_co_u32 v6, vcc_lo, v14, s5
	v_add_co_ci_u32_e32 v7, vcc_lo, s4, v15, vcc_lo
	v_add_co_u32 v14, vcc_lo, v6, s5
	v_add_co_ci_u32_e32 v15, vcc_lo, s4, v7, vcc_lo
	global_store_dwordx4 v[6:7], v[2:5], off
	global_load_dwordx4 v[2:5], v255, s[6:7] offset:336
	s_waitcnt vmcnt(0) lgkmcnt(0)
	v_mul_f64 v[8:9], v[12:13], v[4:5]
	v_mul_f64 v[4:5], v[10:11], v[4:5]
	v_fma_f64 v[8:9], v[10:11], v[2:3], v[8:9]
	v_fma_f64 v[4:5], v[2:3], v[12:13], -v[4:5]
	v_mul_f64 v[2:3], v[8:9], s[2:3]
	v_mul_f64 v[4:5], v[4:5], s[2:3]
	global_store_dwordx4 v[14:15], v[2:5], off
	global_load_dwordx4 v[2:5], v255, s[6:7] offset:448
	ds_read_b128 v[6:9], v185 offset:448
	ds_read_b128 v[10:13], v185 offset:560
	s_waitcnt vmcnt(0) lgkmcnt(1)
	v_mul_f64 v[16:17], v[8:9], v[4:5]
	v_mul_f64 v[4:5], v[6:7], v[4:5]
	v_fma_f64 v[6:7], v[6:7], v[2:3], v[16:17]
	v_fma_f64 v[4:5], v[2:3], v[8:9], -v[4:5]
	v_mul_f64 v[2:3], v[6:7], s[2:3]
	v_mul_f64 v[4:5], v[4:5], s[2:3]
	v_add_co_u32 v6, vcc_lo, v14, s5
	v_add_co_ci_u32_e32 v7, vcc_lo, s4, v15, vcc_lo
	v_add_co_u32 v14, vcc_lo, v6, s5
	v_add_co_ci_u32_e32 v15, vcc_lo, s4, v7, vcc_lo
	global_store_dwordx4 v[6:7], v[2:5], off
	global_load_dwordx4 v[2:5], v255, s[6:7] offset:560
	;; [unrolled: 24-line block ×3, first 2 shown]
	s_waitcnt vmcnt(0) lgkmcnt(0)
	v_mul_f64 v[8:9], v[12:13], v[4:5]
	v_mul_f64 v[4:5], v[10:11], v[4:5]
	v_fma_f64 v[8:9], v[10:11], v[2:3], v[8:9]
	v_fma_f64 v[4:5], v[2:3], v[12:13], -v[4:5]
	v_mul_f64 v[2:3], v[8:9], s[2:3]
	v_mul_f64 v[4:5], v[4:5], s[2:3]
	global_store_dwordx4 v[14:15], v[2:5], off
	global_load_dwordx4 v[2:5], v255, s[6:7] offset:896
	ds_read_b128 v[6:9], v185 offset:896
	ds_read_b128 v[10:13], v185 offset:1008
	v_mad_u64_u32 v[14:15], null, 0xe0, s0, v[14:15]
	s_waitcnt vmcnt(0) lgkmcnt(1)
	v_mul_f64 v[16:17], v[8:9], v[4:5]
	v_mul_f64 v[4:5], v[6:7], v[4:5]
	v_fma_f64 v[6:7], v[6:7], v[2:3], v[16:17]
	v_fma_f64 v[4:5], v[2:3], v[8:9], -v[4:5]
	buffer_load_dword v3, off, s[56:59], 0 offset:20 ; 4-byte Folded Reload
	v_mul_f64 v[4:5], v[4:5], s[2:3]
	s_waitcnt vmcnt(0)
	v_mad_u64_u32 v[8:9], null, s0, v3, 0
	v_mov_b32_e32 v2, v9
	v_mad_u64_u32 v[16:17], null, s1, v3, v[2:3]
	v_mul_f64 v[2:3], v[6:7], s[2:3]
	v_mov_b32_e32 v9, v16
	v_lshlrev_b64 v[6:7], 4, v[8:9]
	v_add_co_u32 v6, vcc_lo, v0, v6
	v_add_co_ci_u32_e32 v7, vcc_lo, v1, v7, vcc_lo
	global_store_dwordx4 v[6:7], v[2:5], off
	global_load_dwordx4 v[2:5], v255, s[6:7] offset:1008
	s_waitcnt vmcnt(0) lgkmcnt(0)
	v_mul_f64 v[6:7], v[12:13], v[4:5]
	v_mul_f64 v[4:5], v[10:11], v[4:5]
	v_fma_f64 v[6:7], v[10:11], v[2:3], v[6:7]
	v_fma_f64 v[4:5], v[2:3], v[12:13], -v[4:5]
	v_mul_f64 v[2:3], v[6:7], s[2:3]
	v_mul_f64 v[4:5], v[4:5], s[2:3]
	v_mov_b32_e32 v6, v15
	v_mad_u64_u32 v[6:7], null, 0xe0, s1, v[6:7]
	v_mov_b32_e32 v15, v6
	global_store_dwordx4 v[14:15], v[2:5], off
	global_load_dwordx4 v[2:5], v255, s[6:7] offset:1120
	ds_read_b128 v[6:9], v185 offset:1120
	ds_read_b128 v[10:13], v185 offset:1232
	s_waitcnt vmcnt(0) lgkmcnt(1)
	v_mul_f64 v[16:17], v[8:9], v[4:5]
	v_mul_f64 v[4:5], v[6:7], v[4:5]
	v_fma_f64 v[6:7], v[6:7], v[2:3], v[16:17]
	v_fma_f64 v[4:5], v[2:3], v[8:9], -v[4:5]
	v_mul_f64 v[2:3], v[6:7], s[2:3]
	v_mul_f64 v[4:5], v[4:5], s[2:3]
	v_add_co_u32 v6, vcc_lo, v14, s5
	v_add_co_ci_u32_e32 v7, vcc_lo, s4, v15, vcc_lo
	v_add_co_u32 v14, vcc_lo, v6, s5
	v_add_co_ci_u32_e32 v15, vcc_lo, s4, v7, vcc_lo
	global_store_dwordx4 v[6:7], v[2:5], off
	global_load_dwordx4 v[2:5], v255, s[6:7] offset:1232
	s_waitcnt vmcnt(0) lgkmcnt(0)
	v_mul_f64 v[8:9], v[12:13], v[4:5]
	v_mul_f64 v[4:5], v[10:11], v[4:5]
	v_fma_f64 v[8:9], v[10:11], v[2:3], v[8:9]
	v_fma_f64 v[4:5], v[2:3], v[12:13], -v[4:5]
	v_mul_f64 v[2:3], v[8:9], s[2:3]
	v_mul_f64 v[4:5], v[4:5], s[2:3]
	global_store_dwordx4 v[14:15], v[2:5], off
	global_load_dwordx4 v[2:5], v255, s[6:7] offset:1344
	ds_read_b128 v[6:9], v185 offset:1344
	ds_read_b128 v[10:13], v185 offset:1456
	s_waitcnt vmcnt(0) lgkmcnt(1)
	v_mul_f64 v[16:17], v[8:9], v[4:5]
	v_mul_f64 v[4:5], v[6:7], v[4:5]
	v_fma_f64 v[6:7], v[6:7], v[2:3], v[16:17]
	v_fma_f64 v[4:5], v[2:3], v[8:9], -v[4:5]
	v_mul_f64 v[2:3], v[6:7], s[2:3]
	v_mul_f64 v[4:5], v[4:5], s[2:3]
	v_add_co_u32 v6, vcc_lo, v14, s5
	v_add_co_ci_u32_e32 v7, vcc_lo, s4, v15, vcc_lo
	v_add_co_u32 v14, vcc_lo, v6, s5
	v_add_co_ci_u32_e32 v15, vcc_lo, s4, v7, vcc_lo
	global_store_dwordx4 v[6:7], v[2:5], off
	global_load_dwordx4 v[2:5], v255, s[6:7] offset:1456
	s_waitcnt vmcnt(0) lgkmcnt(0)
	v_mul_f64 v[8:9], v[12:13], v[4:5]
	v_mul_f64 v[4:5], v[10:11], v[4:5]
	v_fma_f64 v[8:9], v[10:11], v[2:3], v[8:9]
	v_fma_f64 v[4:5], v[2:3], v[12:13], -v[4:5]
	v_mul_f64 v[2:3], v[8:9], s[2:3]
	v_mul_f64 v[4:5], v[4:5], s[2:3]
	global_store_dwordx4 v[14:15], v[2:5], off
	global_load_dwordx4 v[2:5], v255, s[6:7] offset:1568
	ds_read_b128 v[6:9], v185 offset:1568
	ds_read_b128 v[10:13], v185 offset:1680
	s_waitcnt vmcnt(0) lgkmcnt(1)
	v_mul_f64 v[16:17], v[8:9], v[4:5]
	v_mul_f64 v[4:5], v[6:7], v[4:5]
	v_fma_f64 v[6:7], v[6:7], v[2:3], v[16:17]
	v_fma_f64 v[4:5], v[2:3], v[8:9], -v[4:5]
	v_mul_f64 v[2:3], v[6:7], s[2:3]
	v_mul_f64 v[4:5], v[4:5], s[2:3]
	v_add_co_u32 v6, vcc_lo, v14, s5
	v_add_co_ci_u32_e32 v7, vcc_lo, s4, v15, vcc_lo
	global_store_dwordx4 v[6:7], v[2:5], off
	global_load_dwordx4 v[2:5], v255, s[6:7] offset:1680
	v_add_co_u32 v6, vcc_lo, v6, s5
	v_add_co_ci_u32_e32 v7, vcc_lo, s4, v7, vcc_lo
	s_waitcnt vmcnt(0) lgkmcnt(0)
	v_mul_f64 v[8:9], v[12:13], v[4:5]
	v_mul_f64 v[4:5], v[10:11], v[4:5]
	v_fma_f64 v[8:9], v[10:11], v[2:3], v[8:9]
	v_fma_f64 v[4:5], v[2:3], v[12:13], -v[4:5]
	v_mul_f64 v[2:3], v[8:9], s[2:3]
	v_mul_f64 v[4:5], v[4:5], s[2:3]
	global_store_dwordx4 v[6:7], v[2:5], off
	global_load_dwordx4 v[2:5], v255, s[6:7] offset:1792
	ds_read_b128 v[6:9], v185 offset:1792
	s_waitcnt vmcnt(0) lgkmcnt(0)
	v_mul_f64 v[10:11], v[8:9], v[4:5]
	v_mul_f64 v[4:5], v[6:7], v[4:5]
	v_fma_f64 v[6:7], v[6:7], v[2:3], v[10:11]
	v_fma_f64 v[4:5], v[2:3], v[8:9], -v[4:5]
	buffer_load_dword v3, off, s[56:59], 0 offset:16 ; 4-byte Folded Reload
	v_mul_f64 v[4:5], v[4:5], s[2:3]
	s_waitcnt vmcnt(0)
	v_mad_u64_u32 v[8:9], null, s0, v3, 0
	v_mov_b32_e32 v2, v9
	v_mad_u64_u32 v[9:10], null, s1, v3, v[2:3]
	v_mul_f64 v[2:3], v[6:7], s[2:3]
	v_lshlrev_b64 v[6:7], 4, v[8:9]
	v_add_co_u32 v0, vcc_lo, v0, v6
	v_add_co_ci_u32_e32 v1, vcc_lo, v1, v7, vcc_lo
	global_store_dwordx4 v[0:1], v[2:5], off
.LBB0_15:
	s_endpgm
	.section	.rodata,"a",@progbits
	.p2align	6, 0x0
	.amdhsa_kernel bluestein_single_fwd_len119_dim1_dp_op_CI_CI
		.amdhsa_group_segment_fixed_size 28560
		.amdhsa_private_segment_fixed_size 428
		.amdhsa_kernarg_size 104
		.amdhsa_user_sgpr_count 6
		.amdhsa_user_sgpr_private_segment_buffer 1
		.amdhsa_user_sgpr_dispatch_ptr 0
		.amdhsa_user_sgpr_queue_ptr 0
		.amdhsa_user_sgpr_kernarg_segment_ptr 1
		.amdhsa_user_sgpr_dispatch_id 0
		.amdhsa_user_sgpr_flat_scratch_init 0
		.amdhsa_user_sgpr_private_segment_size 0
		.amdhsa_wavefront_size32 1
		.amdhsa_uses_dynamic_stack 0
		.amdhsa_system_sgpr_private_segment_wavefront_offset 1
		.amdhsa_system_sgpr_workgroup_id_x 1
		.amdhsa_system_sgpr_workgroup_id_y 0
		.amdhsa_system_sgpr_workgroup_id_z 0
		.amdhsa_system_sgpr_workgroup_info 0
		.amdhsa_system_vgpr_workitem_id 0
		.amdhsa_next_free_vgpr 256
		.amdhsa_next_free_sgpr 60
		.amdhsa_reserve_vcc 1
		.amdhsa_reserve_flat_scratch 0
		.amdhsa_float_round_mode_32 0
		.amdhsa_float_round_mode_16_64 0
		.amdhsa_float_denorm_mode_32 3
		.amdhsa_float_denorm_mode_16_64 3
		.amdhsa_dx10_clamp 1
		.amdhsa_ieee_mode 1
		.amdhsa_fp16_overflow 0
		.amdhsa_workgroup_processor_mode 1
		.amdhsa_memory_ordered 1
		.amdhsa_forward_progress 0
		.amdhsa_shared_vgpr_count 0
		.amdhsa_exception_fp_ieee_invalid_op 0
		.amdhsa_exception_fp_denorm_src 0
		.amdhsa_exception_fp_ieee_div_zero 0
		.amdhsa_exception_fp_ieee_overflow 0
		.amdhsa_exception_fp_ieee_underflow 0
		.amdhsa_exception_fp_ieee_inexact 0
		.amdhsa_exception_int_div_zero 0
	.end_amdhsa_kernel
	.text
.Lfunc_end0:
	.size	bluestein_single_fwd_len119_dim1_dp_op_CI_CI, .Lfunc_end0-bluestein_single_fwd_len119_dim1_dp_op_CI_CI
                                        ; -- End function
	.section	.AMDGPU.csdata,"",@progbits
; Kernel info:
; codeLenInByte = 22576
; NumSgprs: 62
; NumVgprs: 256
; ScratchSize: 428
; MemoryBound: 0
; FloatMode: 240
; IeeeMode: 1
; LDSByteSize: 28560 bytes/workgroup (compile time only)
; SGPRBlocks: 7
; VGPRBlocks: 31
; NumSGPRsForWavesPerEU: 62
; NumVGPRsForWavesPerEU: 256
; Occupancy: 4
; WaveLimiterHint : 1
; COMPUTE_PGM_RSRC2:SCRATCH_EN: 1
; COMPUTE_PGM_RSRC2:USER_SGPR: 6
; COMPUTE_PGM_RSRC2:TRAP_HANDLER: 0
; COMPUTE_PGM_RSRC2:TGID_X_EN: 1
; COMPUTE_PGM_RSRC2:TGID_Y_EN: 0
; COMPUTE_PGM_RSRC2:TGID_Z_EN: 0
; COMPUTE_PGM_RSRC2:TIDIG_COMP_CNT: 0
	.text
	.p2alignl 6, 3214868480
	.fill 48, 4, 3214868480
	.type	__hip_cuid_182e49845ccb40f0,@object ; @__hip_cuid_182e49845ccb40f0
	.section	.bss,"aw",@nobits
	.globl	__hip_cuid_182e49845ccb40f0
__hip_cuid_182e49845ccb40f0:
	.byte	0                               ; 0x0
	.size	__hip_cuid_182e49845ccb40f0, 1

	.ident	"AMD clang version 19.0.0git (https://github.com/RadeonOpenCompute/llvm-project roc-6.4.0 25133 c7fe45cf4b819c5991fe208aaa96edf142730f1d)"
	.section	".note.GNU-stack","",@progbits
	.addrsig
	.addrsig_sym __hip_cuid_182e49845ccb40f0
	.amdgpu_metadata
---
amdhsa.kernels:
  - .args:
      - .actual_access:  read_only
        .address_space:  global
        .offset:         0
        .size:           8
        .value_kind:     global_buffer
      - .actual_access:  read_only
        .address_space:  global
        .offset:         8
        .size:           8
        .value_kind:     global_buffer
      - .actual_access:  read_only
        .address_space:  global
        .offset:         16
        .size:           8
        .value_kind:     global_buffer
      - .actual_access:  read_only
        .address_space:  global
        .offset:         24
        .size:           8
        .value_kind:     global_buffer
      - .actual_access:  read_only
        .address_space:  global
        .offset:         32
        .size:           8
        .value_kind:     global_buffer
      - .offset:         40
        .size:           8
        .value_kind:     by_value
      - .address_space:  global
        .offset:         48
        .size:           8
        .value_kind:     global_buffer
      - .address_space:  global
        .offset:         56
        .size:           8
        .value_kind:     global_buffer
      - .address_space:  global
        .offset:         64
        .size:           8
        .value_kind:     global_buffer
      - .address_space:  global
        .offset:         72
        .size:           8
        .value_kind:     global_buffer
      - .offset:         80
        .size:           4
        .value_kind:     by_value
      - .address_space:  global
        .offset:         88
        .size:           8
        .value_kind:     global_buffer
      - .address_space:  global
        .offset:         96
        .size:           8
        .value_kind:     global_buffer
    .group_segment_fixed_size: 28560
    .kernarg_segment_align: 8
    .kernarg_segment_size: 104
    .language:       OpenCL C
    .language_version:
      - 2
      - 0
    .max_flat_workgroup_size: 255
    .name:           bluestein_single_fwd_len119_dim1_dp_op_CI_CI
    .private_segment_fixed_size: 428
    .sgpr_count:     62
    .sgpr_spill_count: 0
    .symbol:         bluestein_single_fwd_len119_dim1_dp_op_CI_CI.kd
    .uniform_work_group_size: 1
    .uses_dynamic_stack: false
    .vgpr_count:     256
    .vgpr_spill_count: 112
    .wavefront_size: 32
    .workgroup_processor_mode: 1
amdhsa.target:   amdgcn-amd-amdhsa--gfx1030
amdhsa.version:
  - 1
  - 2
...

	.end_amdgpu_metadata
